;; amdgpu-corpus repo=ROCm/rocFFT kind=compiled arch=gfx950 opt=O3
	.text
	.amdgcn_target "amdgcn-amd-amdhsa--gfx950"
	.amdhsa_code_object_version 6
	.protected	fft_rtc_back_len1512_factors_2_2_2_3_3_3_7_wgs_63_tpt_63_halfLds_dp_ip_CI_unitstride_sbrr_dirReg ; -- Begin function fft_rtc_back_len1512_factors_2_2_2_3_3_3_7_wgs_63_tpt_63_halfLds_dp_ip_CI_unitstride_sbrr_dirReg
	.globl	fft_rtc_back_len1512_factors_2_2_2_3_3_3_7_wgs_63_tpt_63_halfLds_dp_ip_CI_unitstride_sbrr_dirReg
	.p2align	8
	.type	fft_rtc_back_len1512_factors_2_2_2_3_3_3_7_wgs_63_tpt_63_halfLds_dp_ip_CI_unitstride_sbrr_dirReg,@function
fft_rtc_back_len1512_factors_2_2_2_3_3_3_7_wgs_63_tpt_63_halfLds_dp_ip_CI_unitstride_sbrr_dirReg: ; @fft_rtc_back_len1512_factors_2_2_2_3_3_3_7_wgs_63_tpt_63_halfLds_dp_ip_CI_unitstride_sbrr_dirReg
; %bb.0:
	s_load_dwordx2 s[8:9], s[0:1], 0x50
	s_load_dwordx4 s[4:7], s[0:1], 0x0
	s_load_dwordx2 s[10:11], s[0:1], 0x18
	v_mul_u32_u24_e32 v1, 0x411, v0
	v_add_u32_sdwa v6, s2, v1 dst_sel:DWORD dst_unused:UNUSED_PAD src0_sel:DWORD src1_sel:WORD_1
	v_mov_b32_e32 v4, 0
	s_waitcnt lgkmcnt(0)
	v_cmp_lt_u64_e64 s[2:3], s[6:7], 2
	v_mov_b32_e32 v7, v4
	s_and_b64 vcc, exec, s[2:3]
	v_mov_b64_e32 v[2:3], 0
	s_cbranch_vccnz .LBB0_8
; %bb.1:
	s_load_dwordx2 s[2:3], s[0:1], 0x10
	s_add_u32 s12, s10, 8
	s_addc_u32 s13, s11, 0
	s_mov_b64 s[14:15], 1
	v_mov_b64_e32 v[2:3], 0
	s_waitcnt lgkmcnt(0)
	s_add_u32 s16, s2, 8
	s_addc_u32 s17, s3, 0
.LBB0_2:                                ; =>This Inner Loop Header: Depth=1
	s_load_dwordx2 s[18:19], s[16:17], 0x0
                                        ; implicit-def: $vgpr8_vgpr9
	s_waitcnt lgkmcnt(0)
	v_or_b32_e32 v5, s19, v7
	v_cmp_ne_u64_e32 vcc, 0, v[4:5]
	s_and_saveexec_b64 s[2:3], vcc
	s_xor_b64 s[20:21], exec, s[2:3]
	s_cbranch_execz .LBB0_4
; %bb.3:                                ;   in Loop: Header=BB0_2 Depth=1
	v_cvt_f32_u32_e32 v1, s18
	v_cvt_f32_u32_e32 v5, s19
	s_sub_u32 s2, 0, s18
	s_subb_u32 s3, 0, s19
	v_fmac_f32_e32 v1, 0x4f800000, v5
	v_rcp_f32_e32 v1, v1
	s_nop 0
	v_mul_f32_e32 v1, 0x5f7ffffc, v1
	v_mul_f32_e32 v5, 0x2f800000, v1
	v_trunc_f32_e32 v5, v5
	v_fmac_f32_e32 v1, 0xcf800000, v5
	v_cvt_u32_f32_e32 v5, v5
	v_cvt_u32_f32_e32 v1, v1
	v_mul_lo_u32 v8, s2, v5
	v_mul_hi_u32 v10, s2, v1
	v_mul_lo_u32 v9, s3, v1
	v_add_u32_e32 v10, v10, v8
	v_mul_lo_u32 v12, s2, v1
	v_add_u32_e32 v13, v10, v9
	v_mul_hi_u32 v8, v1, v12
	v_mul_hi_u32 v11, v1, v13
	v_mul_lo_u32 v10, v1, v13
	v_mov_b32_e32 v9, v4
	v_lshl_add_u64 v[8:9], v[8:9], 0, v[10:11]
	v_mul_hi_u32 v11, v5, v12
	v_mul_lo_u32 v12, v5, v12
	v_add_co_u32_e32 v8, vcc, v8, v12
	v_mul_hi_u32 v10, v5, v13
	s_nop 0
	v_addc_co_u32_e32 v8, vcc, v9, v11, vcc
	v_mov_b32_e32 v9, v4
	s_nop 0
	v_addc_co_u32_e32 v11, vcc, 0, v10, vcc
	v_mul_lo_u32 v10, v5, v13
	v_lshl_add_u64 v[8:9], v[8:9], 0, v[10:11]
	v_add_co_u32_e32 v1, vcc, v1, v8
	v_mul_lo_u32 v10, s2, v1
	s_nop 0
	v_addc_co_u32_e32 v5, vcc, v5, v9, vcc
	v_mul_lo_u32 v8, s2, v5
	v_mul_hi_u32 v9, s2, v1
	v_add_u32_e32 v8, v9, v8
	v_mul_lo_u32 v9, s3, v1
	v_add_u32_e32 v12, v8, v9
	v_mul_hi_u32 v14, v5, v10
	v_mul_lo_u32 v15, v5, v10
	v_mul_hi_u32 v9, v1, v12
	v_mul_lo_u32 v8, v1, v12
	v_mul_hi_u32 v10, v1, v10
	v_mov_b32_e32 v11, v4
	v_lshl_add_u64 v[8:9], v[10:11], 0, v[8:9]
	v_add_co_u32_e32 v8, vcc, v8, v15
	v_mul_hi_u32 v13, v5, v12
	s_nop 0
	v_addc_co_u32_e32 v8, vcc, v9, v14, vcc
	v_mul_lo_u32 v10, v5, v12
	s_nop 0
	v_addc_co_u32_e32 v11, vcc, 0, v13, vcc
	v_mov_b32_e32 v9, v4
	v_lshl_add_u64 v[8:9], v[8:9], 0, v[10:11]
	v_add_co_u32_e32 v1, vcc, v1, v8
	v_mul_hi_u32 v10, v6, v1
	s_nop 0
	v_addc_co_u32_e32 v5, vcc, v5, v9, vcc
	v_mad_u64_u32 v[8:9], s[2:3], v6, v5, 0
	v_mov_b32_e32 v11, v4
	v_lshl_add_u64 v[8:9], v[10:11], 0, v[8:9]
	v_mad_u64_u32 v[12:13], s[2:3], v7, v1, 0
	v_add_co_u32_e32 v1, vcc, v8, v12
	v_mad_u64_u32 v[10:11], s[2:3], v7, v5, 0
	s_nop 0
	v_addc_co_u32_e32 v8, vcc, v9, v13, vcc
	v_mov_b32_e32 v9, v4
	s_nop 0
	v_addc_co_u32_e32 v11, vcc, 0, v11, vcc
	v_lshl_add_u64 v[8:9], v[8:9], 0, v[10:11]
	v_mul_lo_u32 v1, s19, v8
	v_mul_lo_u32 v5, s18, v9
	v_mad_u64_u32 v[10:11], s[2:3], s18, v8, 0
	v_add3_u32 v1, v11, v5, v1
	v_sub_u32_e32 v5, v7, v1
	v_mov_b32_e32 v11, s19
	v_sub_co_u32_e32 v14, vcc, v6, v10
	v_lshl_add_u64 v[12:13], v[8:9], 0, 1
	s_nop 0
	v_subb_co_u32_e64 v5, s[2:3], v5, v11, vcc
	v_subrev_co_u32_e64 v10, s[2:3], s18, v14
	v_subb_co_u32_e32 v1, vcc, v7, v1, vcc
	s_nop 0
	v_subbrev_co_u32_e64 v5, s[2:3], 0, v5, s[2:3]
	v_cmp_le_u32_e64 s[2:3], s19, v5
	v_cmp_le_u32_e32 vcc, s19, v1
	s_nop 0
	v_cndmask_b32_e64 v11, 0, -1, s[2:3]
	v_cmp_le_u32_e64 s[2:3], s18, v10
	s_nop 1
	v_cndmask_b32_e64 v10, 0, -1, s[2:3]
	v_cmp_eq_u32_e64 s[2:3], s19, v5
	s_nop 1
	v_cndmask_b32_e64 v5, v11, v10, s[2:3]
	v_lshl_add_u64 v[10:11], v[8:9], 0, 2
	v_cmp_ne_u32_e64 s[2:3], 0, v5
	s_nop 1
	v_cndmask_b32_e64 v5, v13, v11, s[2:3]
	v_cndmask_b32_e64 v11, 0, -1, vcc
	v_cmp_le_u32_e32 vcc, s18, v14
	s_nop 1
	v_cndmask_b32_e64 v13, 0, -1, vcc
	v_cmp_eq_u32_e32 vcc, s19, v1
	s_nop 1
	v_cndmask_b32_e32 v1, v11, v13, vcc
	v_cmp_ne_u32_e32 vcc, 0, v1
	v_cndmask_b32_e64 v1, v12, v10, s[2:3]
	s_nop 0
	v_cndmask_b32_e32 v9, v9, v5, vcc
	v_cndmask_b32_e32 v8, v8, v1, vcc
.LBB0_4:                                ;   in Loop: Header=BB0_2 Depth=1
	s_andn2_saveexec_b64 s[2:3], s[20:21]
	s_cbranch_execz .LBB0_6
; %bb.5:                                ;   in Loop: Header=BB0_2 Depth=1
	v_cvt_f32_u32_e32 v1, s18
	s_sub_i32 s20, 0, s18
	v_rcp_iflag_f32_e32 v1, v1
	s_nop 0
	v_mul_f32_e32 v1, 0x4f7ffffe, v1
	v_cvt_u32_f32_e32 v1, v1
	v_mul_lo_u32 v5, s20, v1
	v_mul_hi_u32 v5, v1, v5
	v_add_u32_e32 v1, v1, v5
	v_mul_hi_u32 v1, v6, v1
	v_mul_lo_u32 v5, v1, s18
	v_sub_u32_e32 v5, v6, v5
	v_add_u32_e32 v8, 1, v1
	v_subrev_u32_e32 v9, s18, v5
	v_cmp_le_u32_e32 vcc, s18, v5
	s_nop 1
	v_cndmask_b32_e32 v5, v5, v9, vcc
	v_cndmask_b32_e32 v1, v1, v8, vcc
	v_add_u32_e32 v8, 1, v1
	v_cmp_le_u32_e32 vcc, s18, v5
	v_mov_b32_e32 v9, v4
	s_nop 0
	v_cndmask_b32_e32 v8, v1, v8, vcc
.LBB0_6:                                ;   in Loop: Header=BB0_2 Depth=1
	s_or_b64 exec, exec, s[2:3]
	v_mad_u64_u32 v[10:11], s[2:3], v8, s18, 0
	s_load_dwordx2 s[2:3], s[12:13], 0x0
	v_mul_lo_u32 v1, v9, s18
	v_mul_lo_u32 v5, v8, s19
	v_add3_u32 v1, v11, v5, v1
	v_sub_co_u32_e32 v5, vcc, v6, v10
	s_add_u32 s14, s14, 1
	s_nop 0
	v_subb_co_u32_e32 v1, vcc, v7, v1, vcc
	s_addc_u32 s15, s15, 0
	s_waitcnt lgkmcnt(0)
	v_mul_lo_u32 v1, s2, v1
	v_mul_lo_u32 v6, s3, v5
	v_mad_u64_u32 v[2:3], s[2:3], s2, v5, v[2:3]
	s_add_u32 s12, s12, 8
	v_add3_u32 v3, v6, v3, v1
	s_addc_u32 s13, s13, 0
	v_mov_b64_e32 v[6:7], s[6:7]
	s_add_u32 s16, s16, 8
	v_cmp_ge_u64_e32 vcc, s[14:15], v[6:7]
	s_addc_u32 s17, s17, 0
	s_cbranch_vccnz .LBB0_9
; %bb.7:                                ;   in Loop: Header=BB0_2 Depth=1
	v_mov_b64_e32 v[6:7], v[8:9]
	s_branch .LBB0_2
.LBB0_8:
	v_mov_b64_e32 v[8:9], v[6:7]
.LBB0_9:
	s_lshl_b64 s[2:3], s[6:7], 3
	s_add_u32 s2, s10, s2
	s_addc_u32 s3, s11, s3
	s_load_dwordx2 s[6:7], s[2:3], 0x0
	s_load_dwordx2 s[10:11], s[0:1], 0x20
	s_mov_b32 s2, 0x4104105
                                        ; implicit-def: $vgpr62_vgpr63
                                        ; implicit-def: $vgpr46_vgpr47
                                        ; implicit-def: $vgpr54_vgpr55
                                        ; implicit-def: $vgpr42_vgpr43
                                        ; implicit-def: $vgpr58_vgpr59
                                        ; implicit-def: $vgpr38_vgpr39
                                        ; implicit-def: $vgpr70_vgpr71
                                        ; implicit-def: $vgpr66_vgpr67
                                        ; implicit-def: $vgpr78_vgpr79
                                        ; implicit-def: $vgpr34_vgpr35
                                        ; implicit-def: $vgpr82_vgpr83
                                        ; implicit-def: $vgpr30_vgpr31
                                        ; implicit-def: $vgpr86_vgpr87
                                        ; implicit-def: $vgpr22_vgpr23
                                        ; implicit-def: $vgpr26_vgpr27
                                        ; implicit-def: $vgpr50_vgpr51
                                        ; implicit-def: $vgpr18_vgpr19
                                        ; implicit-def: $vgpr10_vgpr11
                                        ; implicit-def: $vgpr14_vgpr15
                                        ; implicit-def: $vgpr6_vgpr7
                                        ; implicit-def: $vgpr74_vgpr75
                                        ; implicit-def: $vgpr94_vgpr95
                                        ; implicit-def: $vgpr90_vgpr91
	s_waitcnt lgkmcnt(0)
	v_mul_lo_u32 v1, s6, v9
	v_mul_lo_u32 v4, s7, v8
	v_mad_u64_u32 v[2:3], s[0:1], s6, v8, v[2:3]
	v_add3_u32 v3, v4, v3, v1
	v_mul_hi_u32 v1, v0, s2
	v_mul_u32_u24_e32 v1, 63, v1
	v_cmp_gt_u64_e64 s[0:1], s[10:11], v[8:9]
	v_sub_u32_e32 v152, v0, v1
	v_lshl_add_u64 v[154:155], v[2:3], 4, s[8:9]
                                        ; implicit-def: $vgpr2_vgpr3
	s_and_saveexec_b64 s[2:3], s[0:1]
	s_cbranch_execz .LBB0_11
; %bb.10:
	v_mov_b32_e32 v153, 0
	v_lshl_add_u64 v[96:97], v[152:153], 4, v[154:155]
	v_add_co_u32_e32 v98, vcc, 0x2000, v96
	s_movk_i32 s6, 0x3000
	s_nop 0
	v_addc_co_u32_e32 v99, vcc, 0, v97, vcc
	v_add_co_u32_e32 v100, vcc, s6, v96
	s_movk_i32 s6, 0x1000
	s_nop 0
	v_addc_co_u32_e32 v101, vcc, 0, v97, vcc
	;; [unrolled: 4-line block ×4, first 2 shown]
	v_add_co_u32_e32 v106, vcc, s6, v96
	global_load_dwordx4 v[88:91], v[96:97], off
	global_load_dwordx4 v[0:3], v[96:97], off offset:1008
	global_load_dwordx4 v[4:7], v[96:97], off offset:2016
	;; [unrolled: 1-line block ×9, first 2 shown]
	v_addc_co_u32_e32 v107, vcc, 0, v97, vcc
	global_load_dwordx4 v[72:75], v[100:101], off offset:816
	global_load_dwordx4 v[92:95], v[98:99], off offset:3904
	global_load_dwordx4 v[48:51], v[96:97], off offset:4032
	global_load_dwordx4 v[36:39], v[98:99], off offset:880
	global_load_dwordx4 v[40:43], v[98:99], off offset:1888
	global_load_dwordx4 v[44:47], v[98:99], off offset:2896
	global_load_dwordx4 v[64:67], v[102:103], off offset:3968
	global_load_dwordx4 v[84:87], v[104:105], off offset:752
	global_load_dwordx4 v[80:83], v[104:105], off offset:1760
	global_load_dwordx4 v[76:79], v[104:105], off offset:2768
	global_load_dwordx4 v[68:71], v[104:105], off offset:3776
	global_load_dwordx4 v[56:59], v[106:107], off offset:688
	global_load_dwordx4 v[52:55], v[106:107], off offset:1696
	global_load_dwordx4 v[60:63], v[106:107], off offset:2704
.LBB0_11:
	s_or_b64 exec, exec, s[2:3]
	s_waitcnt vmcnt(12)
	v_add_f64 v[106:107], v[90:91], -v[94:95]
	v_add_f64 v[96:97], v[88:89], -v[92:93]
	v_fma_f64 v[104:105], v[90:91], 2.0, -v[106:107]
	v_add_f64 v[90:91], v[0:1], -v[72:73]
	s_waitcnt vmcnt(6)
	v_add_f64 v[118:119], v[20:21], -v[84:85]
	v_add_u32_e32 v138, 63, v152
	v_fma_f64 v[94:95], v[88:89], 2.0, -v[96:97]
	v_fma_f64 v[88:89], v[0:1], 2.0, -v[90:91]
	v_add_f64 v[100:101], v[4:5], -v[12:13]
	v_add_f64 v[110:111], v[8:9], -v[16:17]
	v_fma_f64 v[116:117], v[20:21], 2.0, -v[118:119]
	s_waitcnt vmcnt(5)
	v_add_f64 v[122:123], v[28:29], -v[80:81]
	v_lshl_add_u32 v17, v152, 4, 0
	v_lshl_add_u32 v20, v138, 4, 0
	v_add_u32_e32 v142, 0x7e, v152
	v_fma_f64 v[98:99], v[4:5], 2.0, -v[100:101]
	v_add_f64 v[114:115], v[48:49], -v[24:25]
	v_fma_f64 v[120:121], v[28:29], 2.0, -v[122:123]
	ds_write_b128 v17, v[94:97]
	ds_write_b128 v20, v[88:91]
	s_waitcnt vmcnt(4)
	v_add_f64 v[90:91], v[32:33], -v[76:77]
	v_lshl_add_u32 v28, v142, 4, 0
	v_add_u32_e32 v160, 0xbd, v152
	s_waitcnt vmcnt(3)
	v_add_f64 v[94:95], v[64:65], -v[68:69]
	v_add_u32_e32 v136, 0x13b, v152
	v_add_u32_e32 v137, 0xfc, v152
	v_add_u32_e32 v133, 0x1b9, v152
	v_add_u32_e32 v134, 0x17a, v152
	v_add_u32_e32 v16, 0x1f8, v152
	v_fma_f64 v[108:109], v[8:9], 2.0, -v[110:111]
	v_fma_f64 v[112:113], v[48:49], 2.0, -v[114:115]
	;; [unrolled: 1-line block ×3, first 2 shown]
	ds_write_b128 v28, v[98:101]
	v_lshl_add_u32 v29, v160, 4, 0
	v_fma_f64 v[92:93], v[64:65], 2.0, -v[94:95]
	v_lshl_add_u32 v69, v137, 4, 0
	v_lshl_add_u32 v80, v136, 4, 0
	s_waitcnt vmcnt(2)
	v_add_f64 v[98:99], v[36:37], -v[56:57]
	v_lshl_add_u32 v56, v134, 4, 0
	v_lshl_add_u32 v57, v133, 4, 0
	;; [unrolled: 1-line block ×3, first 2 shown]
	ds_write_b128 v29, v[108:111]
	ds_write_b128 v69, v[112:115]
	;; [unrolled: 1-line block ×5, first 2 shown]
	s_waitcnt vmcnt(1)
	v_add_f64 v[90:91], v[40:41], -v[52:53]
	ds_write_b128 v81, v[92:95]
	v_add_u32_e32 v68, 0x237, v152
	s_waitcnt vmcnt(0)
	v_add_f64 v[94:95], v[44:45], -v[60:61]
	v_add_u32_e32 v64, 0x276, v152
	v_add_u32_e32 v65, 0x2b5, v152
	v_lshlrev_b32_e32 v0, 3, v134
	v_add_f64 v[74:75], v[2:3], -v[74:75]
	v_fma_f64 v[96:97], v[36:37], 2.0, -v[98:99]
	v_fma_f64 v[88:89], v[40:41], 2.0, -v[90:91]
	v_lshl_add_u32 v84, v68, 4, 0
	v_fma_f64 v[92:93], v[44:45], 2.0, -v[94:95]
	v_lshl_add_u32 v60, v64, 4, 0
	v_lshl_add_u32 v61, v65, 4, 0
	;; [unrolled: 1-line block ×4, first 2 shown]
	v_sub_u32_e32 v141, v56, v0
	v_lshlrev_b32_e32 v0, 3, v133
	v_fma_f64 v[72:73], v[2:3], 2.0, -v[74:75]
	ds_write_b128 v84, v[96:99]
	ds_write_b128 v60, v[88:91]
	;; [unrolled: 1-line block ×3, first 2 shown]
	s_waitcnt lgkmcnt(0)
	; wave barrier
	s_waitcnt lgkmcnt(0)
	v_add_u32_e32 v144, 0x1400, v143
	v_add_u32_e32 v145, 0x1800, v143
	;; [unrolled: 1-line block ×3, first 2 shown]
	v_sub_u32_e32 v150, v57, v0
	v_lshl_add_u32 v151, v136, 3, 0
	v_add_u32_e32 v147, 0x2000, v143
	v_add_u32_e32 v135, 0xc00, v143
	;; [unrolled: 1-line block ×5, first 2 shown]
	ds_read_b64 v[12:13], v140
	ds_read_b64 v[8:9], v151
	;; [unrolled: 1-line block ×4, first 2 shown]
	ds_read2_b64 v[100:103], v143 offset1:63
	ds_read2_b64 v[128:131], v144 offset0:116 offset1:179
	ds_read2_b64 v[96:99], v143 offset0:126 offset1:189
	;; [unrolled: 1-line block ×9, first 2 shown]
	s_waitcnt lgkmcnt(0)
	; wave barrier
	s_waitcnt lgkmcnt(0)
	ds_write_b128 v17, v[104:107]
	ds_write_b128 v20, v[72:75]
	v_add_f64 v[74:75], v[6:7], -v[14:15]
	v_add_f64 v[20:21], v[10:11], -v[18:19]
	;; [unrolled: 1-line block ×3, first 2 shown]
	v_and_b32_e32 v17, 1, v138
	v_fma_f64 v[72:73], v[6:7], 2.0, -v[74:75]
	v_fma_f64 v[18:19], v[10:11], 2.0, -v[20:21]
	;; [unrolled: 1-line block ×3, first 2 shown]
	v_add_f64 v[50:51], v[22:23], -v[86:87]
	v_add_f64 v[32:33], v[30:31], -v[82:83]
	;; [unrolled: 1-line block ×7, first 2 shown]
	v_lshlrev_b32_e32 v2, 4, v17
	v_fma_f64 v[48:49], v[22:23], 2.0, -v[50:51]
	v_fma_f64 v[30:31], v[30:31], 2.0, -v[32:33]
	;; [unrolled: 1-line block ×7, first 2 shown]
	ds_write_b128 v28, v[72:75]
	ds_write_b128 v29, v[18:21]
	;; [unrolled: 1-line block ×10, first 2 shown]
	s_waitcnt lgkmcnt(0)
	; wave barrier
	s_waitcnt lgkmcnt(0)
	global_load_dwordx4 v[18:21], v2, s[4:5]
	v_and_b32_e32 v79, 1, v152
	v_lshlrev_b32_e32 v2, 4, v79
	v_and_b32_e32 v66, 1, v160
	global_load_dwordx4 v[22:25], v2, s[4:5]
	v_lshlrev_b32_e32 v2, 4, v66
	global_load_dwordx4 v[26:29], v2, s[4:5]
	v_and_b32_e32 v139, 1, v136
	v_lshlrev_b32_e32 v2, 4, v139
	global_load_dwordx4 v[30:33], v2, s[4:5]
	v_and_b32_e32 v153, 1, v133
	;; [unrolled: 3-line block ×4, first 2 shown]
	v_lshlrev_b32_e32 v2, 4, v157
	global_load_dwordx4 v[48:51], v2, s[4:5]
	ds_read2_b64 v[54:57], v144 offset0:116 offset1:179
	ds_read2_b64 v[40:43], v143 offset1:63
	s_movk_i32 s2, 0x7c
	v_lshlrev_b32_e32 v72, 1, v152
	v_lshlrev_b32_e32 v76, 1, v138
	ds_read2_b64 v[80:83], v143 offset0:126 offset1:189
	v_lshlrev_b32_e32 v77, 1, v142
	v_lshlrev_b32_e32 v78, 1, v160
	;; [unrolled: 1-line block ×5, first 2 shown]
	s_movk_i32 s3, 0x2fc
	v_lshlrev_b32_e32 v73, 1, v133
	v_lshlrev_b32_e32 v67, 1, v68
	;; [unrolled: 1-line block ×4, first 2 shown]
	v_and_b32_e32 v68, 3, v68
	s_mov_b32 s6, 0xe8584caa
	s_mov_b32 s7, 0xbfebb67a
	;; [unrolled: 1-line block ×4, first 2 shown]
	v_lshrrev_b32_e32 v161, 3, v142
	v_cmp_gt_u32_e32 vcc, 9, v152
	s_waitcnt vmcnt(6) lgkmcnt(2)
	v_mul_f64 v[2:3], v[56:57], v[20:21]
	v_mul_f64 v[6:7], v[130:131], v[20:21]
	v_fmac_f64_e32 v[2:3], v[130:131], v[18:19]
	v_fma_f64 v[52:53], v[56:57], v[18:19], -v[6:7]
	ds_read2_b64 v[18:21], v145 offset0:114 offset1:177
	s_waitcnt vmcnt(5)
	v_mul_f64 v[10:11], v[128:129], v[24:25]
	v_mul_f64 v[6:7], v[54:55], v[24:25]
	v_fma_f64 v[10:11], v[54:55], v[22:23], -v[10:11]
	v_fmac_f64_e32 v[6:7], v[128:129], v[22:23]
	s_waitcnt vmcnt(4) lgkmcnt(0)
	v_mul_f64 v[14:15], v[20:21], v[28:29]
	v_mul_f64 v[28:29], v[126:127], v[28:29]
	v_fmac_f64_e32 v[14:15], v[126:127], v[26:27]
	v_fma_f64 v[54:55], v[20:21], v[26:27], -v[28:29]
	ds_read2_b64 v[26:29], v146 offset0:112 offset1:175
	v_mul_f64 v[20:21], v[124:125], v[24:25]
	v_mul_f64 v[38:39], v[18:19], v[24:25]
	v_fma_f64 v[58:59], v[18:19], v[22:23], -v[20:21]
	s_waitcnt vmcnt(3)
	v_mul_f64 v[18:19], v[122:123], v[32:33]
	s_waitcnt lgkmcnt(0)
	v_fma_f64 v[56:57], v[28:29], v[30:31], -v[18:19]
	ds_read2_b64 v[18:21], v147 offset0:110 offset1:173
	v_fmac_f64_e32 v[38:39], v[124:125], v[22:23]
	v_mul_f64 v[124:125], v[28:29], v[32:33]
	v_mul_f64 v[28:29], v[120:121], v[24:25]
	v_fmac_f64_e32 v[124:125], v[122:123], v[30:31]
	v_mul_f64 v[30:31], v[26:27], v[24:25]
	v_fma_f64 v[62:63], v[26:27], v[22:23], -v[28:29]
	s_waitcnt vmcnt(2)
	v_mul_f64 v[26:27], v[118:119], v[36:37]
	s_waitcnt lgkmcnt(0)
	v_fma_f64 v[60:61], v[20:21], v[34:35], -v[26:27]
	ds_read2_b64 v[26:29], v132 offset0:108 offset1:171
	v_mul_f64 v[32:33], v[20:21], v[36:37]
	v_fmac_f64_e32 v[32:33], v[118:119], v[34:35]
	v_mul_f64 v[34:35], v[18:19], v[24:25]
	v_mul_f64 v[20:21], v[116:117], v[24:25]
	v_fmac_f64_e32 v[34:35], v[116:117], v[22:23]
	v_fma_f64 v[116:117], v[18:19], v[22:23], -v[20:21]
	s_waitcnt vmcnt(1) lgkmcnt(0)
	v_mul_f64 v[36:37], v[28:29], v[46:47]
	v_mul_f64 v[18:19], v[114:115], v[46:47]
	v_fmac_f64_e32 v[36:37], v[114:115], v[44:45]
	v_fma_f64 v[114:115], v[28:29], v[44:45], -v[18:19]
	ds_read2_b64 v[18:21], v148 offset0:106 offset1:169
	v_mul_f64 v[28:29], v[26:27], v[24:25]
	v_mul_f64 v[44:45], v[112:113], v[24:25]
	v_fmac_f64_e32 v[28:29], v[112:113], v[22:23]
	v_fma_f64 v[112:113], v[26:27], v[22:23], -v[44:45]
	s_waitcnt lgkmcnt(0)
	v_mul_f64 v[26:27], v[18:19], v[24:25]
	v_mul_f64 v[24:25], v[108:109], v[24:25]
	v_fmac_f64_e32 v[30:31], v[120:121], v[22:23]
	v_fmac_f64_e32 v[26:27], v[108:109], v[22:23]
	v_fma_f64 v[108:109], v[18:19], v[22:23], -v[24:25]
	s_waitcnt vmcnt(0)
	v_mul_f64 v[18:19], v[20:21], v[50:51]
	v_mul_f64 v[22:23], v[110:111], v[50:51]
	v_fmac_f64_e32 v[18:19], v[110:111], v[48:49]
	v_fma_f64 v[110:111], v[20:21], v[48:49], -v[22:23]
	v_add_f64 v[6:7], v[100:101], -v[6:7]
	v_and_or_b32 v20, v72, s2, v79
	s_movk_i32 s2, 0xfc
	v_lshl_add_u32 v128, v20, 3, 0
	v_fma_f64 v[20:21], v[100:101], 2.0, -v[6:7]
	v_add_f64 v[2:3], v[102:103], -v[2:3]
	v_and_or_b32 v17, v76, s2, v17
	ds_read_b64 v[118:119], v140
	ds_read_b64 v[120:121], v151
	;; [unrolled: 1-line block ×4, first 2 shown]
	ds_read2_b64 v[84:87], v135 offset0:120 offset1:183
	ds_read2_b64 v[104:107], v149 offset0:118 offset1:181
	s_waitcnt lgkmcnt(0)
	; wave barrier
	s_waitcnt lgkmcnt(0)
	ds_write2_b64 v128, v[20:21], v[6:7] offset1:2
	v_fma_f64 v[6:7], v[102:103], 2.0, -v[2:3]
	v_lshl_add_u32 v100, v17, 3, 0
	s_movk_i32 s2, 0x1fc
	ds_write2_b64 v100, v[6:7], v[2:3] offset1:2
	v_add_f64 v[2:3], v[96:97], -v[38:39]
	v_and_or_b32 v6, v77, s2, v79
	v_lshl_add_u32 v101, v6, 3, 0
	v_fma_f64 v[6:7], v[96:97], 2.0, -v[2:3]
	ds_write2_b64 v101, v[6:7], v[2:3] offset1:2
	v_add_f64 v[2:3], v[98:99], -v[14:15]
	v_and_or_b32 v14, v78, s2, v66
	v_fma_f64 v[6:7], v[98:99], 2.0, -v[2:3]
	v_lshl_add_u32 v96, v14, 3, 0
	ds_write2_b64 v96, v[6:7], v[2:3] offset1:2
	v_add_f64 v[2:3], v[12:13], -v[30:31]
	s_movk_i32 s2, 0x3fc
	v_fma_f64 v[6:7], v[12:13], 2.0, -v[2:3]
	v_and_or_b32 v12, v75, s2, v79
	v_lshl_add_u32 v97, v12, 3, 0
	v_add_f64 v[16:17], v[88:89], -v[26:27]
	ds_write2_b64 v97, v[6:7], v[2:3] offset1:2
	v_add_f64 v[2:3], v[92:93], -v[28:29]
	v_fma_f64 v[20:21], v[88:89], 2.0, -v[16:17]
	v_add_f64 v[88:89], v[40:41], -v[10:11]
	v_add_f64 v[10:11], v[8:9], -v[124:125]
	v_and_or_b32 v28, v74, s3, v139
	v_lshlrev_b32_e32 v66, 1, v134
	v_fma_f64 v[6:7], v[92:93], 2.0, -v[2:3]
	v_fma_f64 v[8:9], v[8:9], 2.0, -v[10:11]
	v_lshl_add_u32 v92, v28, 3, 0
	v_add_f64 v[24:25], v[4:5], -v[34:35]
	ds_write2_b64 v92, v[8:9], v[10:11] offset1:2
	v_and_or_b32 v8, v66, s2, v79
	v_fma_f64 v[4:5], v[4:5], 2.0, -v[24:25]
	v_lshl_add_u32 v93, v8, 3, 0
	v_add_f64 v[12:13], v[94:95], -v[36:37]
	v_add_f64 v[26:27], v[0:1], -v[32:33]
	ds_write2_b64 v93, v[4:5], v[24:25] offset1:2
	v_and_or_b32 v4, v73, s2, v153
	v_fma_f64 v[14:15], v[94:95], 2.0, -v[12:13]
	v_fma_f64 v[0:1], v[0:1], 2.0, -v[26:27]
	v_lshl_add_u32 v94, v4, 3, 0
	s_movk_i32 s2, 0x7fc
	ds_write2_b64 v94, v[0:1], v[26:27] offset1:2
	v_and_or_b32 v0, v69, s2, v79
	s_movk_i32 s2, 0x4fc
	v_lshl_add_u32 v95, v0, 3, 0
	v_and_or_b32 v0, v67, s2, v156
	s_movk_i32 s2, 0x5fc
	v_lshl_add_u32 v98, v0, 3, 0
	v_and_or_b32 v0, v71, s2, v79
	v_add_f64 v[18:19], v[90:91], -v[18:19]
	v_lshl_add_u32 v79, v0, 3, 0
	v_and_or_b32 v0, v70, s2, v157
	v_fma_f64 v[22:23], v[90:91], 2.0, -v[18:19]
	v_lshl_add_u32 v99, v0, 3, 0
	v_fma_f64 v[40:41], v[40:41], 2.0, -v[88:89]
	ds_write2_b64 v95, v[6:7], v[2:3] offset1:2
	ds_write2_b64 v98, v[14:15], v[12:13] offset1:2
	;; [unrolled: 1-line block ×4, first 2 shown]
	s_waitcnt lgkmcnt(0)
	; wave barrier
	s_waitcnt lgkmcnt(0)
	ds_read2_b64 v[12:15], v143 offset1:63
	ds_read2_b64 v[28:31], v144 offset0:116 offset1:179
	ds_read2_b64 v[0:3], v143 offset0:126 offset1:189
	;; [unrolled: 1-line block ×4, first 2 shown]
	ds_read_b64 v[50:51], v140
	ds_read_b64 v[48:49], v151
	;; [unrolled: 1-line block ×4, first 2 shown]
	ds_read2_b64 v[32:35], v147 offset0:110 offset1:173
	ds_read2_b64 v[8:11], v135 offset0:120 offset1:183
	;; [unrolled: 1-line block ×5, first 2 shown]
	s_waitcnt lgkmcnt(0)
	; wave barrier
	s_waitcnt lgkmcnt(0)
	ds_write2_b64 v128, v[40:41], v[88:89] offset1:2
	v_add_f64 v[40:41], v[42:43], -v[52:53]
	v_fma_f64 v[42:43], v[42:43], 2.0, -v[40:41]
	ds_write2_b64 v100, v[42:43], v[40:41] offset1:2
	v_add_f64 v[40:41], v[80:81], -v[58:59]
	v_fma_f64 v[42:43], v[80:81], 2.0, -v[40:41]
	ds_write2_b64 v101, v[42:43], v[40:41] offset1:2
	v_add_f64 v[40:41], v[82:83], -v[54:55]
	v_fma_f64 v[42:43], v[82:83], 2.0, -v[40:41]
	ds_write2_b64 v96, v[42:43], v[40:41] offset1:2
	v_add_f64 v[40:41], v[118:119], -v[62:63]
	v_fma_f64 v[42:43], v[118:119], 2.0, -v[40:41]
	ds_write2_b64 v97, v[42:43], v[40:41] offset1:2
	v_add_f64 v[40:41], v[120:121], -v[56:57]
	v_add_f64 v[56:57], v[126:127], -v[60:61]
	;; [unrolled: 1-line block ×3, first 2 shown]
	v_fma_f64 v[42:43], v[120:121], 2.0, -v[40:41]
	v_add_f64 v[52:53], v[122:123], -v[116:117]
	v_fma_f64 v[62:63], v[84:85], 2.0, -v[60:61]
	v_add_f64 v[80:81], v[86:87], -v[114:115]
	v_add_f64 v[84:85], v[104:105], -v[108:109]
	v_add_f64 v[88:89], v[106:107], -v[110:111]
	v_fma_f64 v[54:55], v[122:123], 2.0, -v[52:53]
	v_fma_f64 v[58:59], v[126:127], 2.0, -v[56:57]
	;; [unrolled: 1-line block ×5, first 2 shown]
	ds_write2_b64 v92, v[42:43], v[40:41] offset1:2
	ds_write2_b64 v93, v[54:55], v[52:53] offset1:2
	;; [unrolled: 1-line block ×7, first 2 shown]
	v_and_b32_e32 v79, 3, v142
	v_lshlrev_b32_e32 v40, 4, v79
	s_waitcnt lgkmcnt(0)
	; wave barrier
	s_waitcnt lgkmcnt(0)
	global_load_dwordx4 v[40:43], v40, s[4:5] offset:32
	v_and_b32_e32 v118, 3, v160
	v_lshlrev_b32_e32 v52, 4, v118
	global_load_dwordx4 v[52:55], v52, s[4:5] offset:32
	v_and_b32_e32 v119, 3, v138
	v_lshlrev_b32_e32 v56, 4, v119
	;; [unrolled: 3-line block ×4, first 2 shown]
	global_load_dwordx4 v[80:83], v80, s[4:5] offset:32
	v_and_b32_e32 v122, 3, v152
	v_and_b32_e32 v123, 3, v136
	v_lshlrev_b32_e32 v84, 4, v122
	v_lshlrev_b32_e32 v88, 4, v123
	global_load_dwordx4 v[84:87], v84, s[4:5] offset:32
	v_lshlrev_b32_e32 v92, 4, v68
	global_load_dwordx4 v[88:91], v88, s[4:5] offset:32
	v_and_b32_e32 v124, 3, v64
	global_load_dwordx4 v[92:95], v92, s[4:5] offset:32
	v_lshlrev_b32_e32 v64, 4, v124
	global_load_dwordx4 v[96:99], v64, s[4:5] offset:32
	v_and_b32_e32 v125, 3, v65
	v_lshlrev_b32_e32 v64, 4, v125
	global_load_dwordx4 v[100:103], v64, s[4:5] offset:32
	ds_read2_b64 v[104:107], v145 offset0:114 offset1:177
	ds_read2_b64 v[108:111], v144 offset0:116 offset1:179
	s_movk_i32 s2, 0x78
	s_movk_i32 s3, 0x2f8
	v_and_b32_e32 v127, 7, v142
	v_and_b32_e32 v128, 7, v160
	;; [unrolled: 1-line block ×6, first 2 shown]
	s_waitcnt vmcnt(9) lgkmcnt(1)
	v_mul_f64 v[64:65], v[104:105], v[42:43]
	v_fmac_f64_e32 v[64:65], v[36:37], v[40:41]
	v_mul_f64 v[36:37], v[36:37], v[42:43]
	v_fma_f64 v[40:41], v[104:105], v[40:41], -v[36:37]
	s_waitcnt vmcnt(8)
	v_mul_f64 v[104:105], v[106:107], v[54:55]
	v_fmac_f64_e32 v[104:105], v[38:39], v[52:53]
	v_mul_f64 v[42:43], v[38:39], v[54:55]
	ds_read2_b64 v[36:39], v147 offset0:110 offset1:173
	v_fma_f64 v[42:43], v[106:107], v[52:53], -v[42:43]
	s_waitcnt vmcnt(7) lgkmcnt(1)
	v_mul_f64 v[106:107], v[110:111], v[58:59]
	v_fmac_f64_e32 v[106:107], v[30:31], v[56:57]
	v_mul_f64 v[30:31], v[30:31], v[58:59]
	v_fma_f64 v[110:111], v[110:111], v[56:57], -v[30:31]
	s_waitcnt vmcnt(6)
	v_mul_f64 v[30:31], v[32:33], v[62:63]
	s_waitcnt lgkmcnt(0)
	v_mul_f64 v[112:113], v[36:37], v[62:63]
	v_fma_f64 v[52:53], v[36:37], v[60:61], -v[30:31]
	s_waitcnt vmcnt(5)
	v_mul_f64 v[30:31], v[34:35], v[82:83]
	v_fmac_f64_e32 v[112:113], v[32:33], v[60:61]
	v_fma_f64 v[54:55], v[38:39], v[80:81], -v[30:31]
	ds_read2_b64 v[30:33], v146 offset0:112 offset1:175
	v_mul_f64 v[36:37], v[38:39], v[82:83]
	v_fmac_f64_e32 v[36:37], v[34:35], v[80:81]
	s_waitcnt vmcnt(4)
	v_mul_f64 v[34:35], v[108:109], v[86:87]
	v_fmac_f64_e32 v[34:35], v[28:29], v[84:85]
	s_waitcnt vmcnt(3) lgkmcnt(0)
	v_mul_f64 v[80:81], v[32:33], v[90:91]
	v_mul_f64 v[28:29], v[28:29], v[86:87]
	v_fmac_f64_e32 v[80:81], v[26:27], v[88:89]
	v_mul_f64 v[26:27], v[26:27], v[90:91]
	v_fma_f64 v[38:39], v[108:109], v[84:85], -v[28:29]
	v_fma_f64 v[90:91], v[32:33], v[88:89], -v[26:27]
	ds_read2_b64 v[26:29], v132 offset0:108 offset1:171
	v_mul_f64 v[32:33], v[30:31], v[86:87]
	v_fmac_f64_e32 v[32:33], v[24:25], v[84:85]
	v_mul_f64 v[24:25], v[24:25], v[86:87]
	v_fma_f64 v[108:109], v[30:31], v[84:85], -v[24:25]
	s_waitcnt lgkmcnt(0)
	v_mul_f64 v[30:31], v[26:27], v[86:87]
	v_fmac_f64_e32 v[30:31], v[20:21], v[84:85]
	v_mul_f64 v[20:21], v[20:21], v[86:87]
	v_fma_f64 v[114:115], v[26:27], v[84:85], -v[20:21]
	ds_read2_b64 v[24:27], v148 offset0:106 offset1:169
	s_waitcnt vmcnt(2)
	v_mul_f64 v[20:21], v[28:29], v[94:95]
	v_fmac_f64_e32 v[20:21], v[22:23], v[92:93]
	v_mul_f64 v[22:23], v[22:23], v[94:95]
	v_fma_f64 v[92:93], v[28:29], v[92:93], -v[22:23]
	s_waitcnt vmcnt(1) lgkmcnt(0)
	v_mul_f64 v[22:23], v[24:25], v[98:99]
	v_fmac_f64_e32 v[22:23], v[16:17], v[96:97]
	v_mul_f64 v[16:17], v[16:17], v[98:99]
	v_fma_f64 v[94:95], v[24:25], v[96:97], -v[16:17]
	s_waitcnt vmcnt(0)
	v_mul_f64 v[16:17], v[26:27], v[102:103]
	v_fmac_f64_e32 v[16:17], v[18:19], v[100:101]
	v_mul_f64 v[18:19], v[18:19], v[102:103]
	v_fma_f64 v[96:97], v[26:27], v[100:101], -v[18:19]
	v_add_f64 v[18:19], v[12:13], -v[34:35]
	v_and_or_b32 v24, v72, s2, v122
	v_lshl_add_u32 v126, v24, 3, 0
	v_fma_f64 v[12:13], v[12:13], 2.0, -v[18:19]
	s_movk_i32 s2, 0xf8
	ds_read_b64 v[98:99], v140
	ds_read_b64 v[100:101], v151
	;; [unrolled: 1-line block ×4, first 2 shown]
	ds_read2_b64 v[56:59], v143 offset1:63
	ds_read2_b64 v[60:63], v143 offset0:126 offset1:189
	ds_read2_b64 v[82:85], v135 offset0:120 offset1:183
	;; [unrolled: 1-line block ×3, first 2 shown]
	s_waitcnt lgkmcnt(0)
	; wave barrier
	s_waitcnt lgkmcnt(0)
	ds_write2_b64 v126, v[12:13], v[18:19] offset1:4
	v_add_f64 v[12:13], v[14:15], -v[106:107]
	v_and_or_b32 v18, v76, s2, v119
	v_fma_f64 v[14:15], v[14:15], 2.0, -v[12:13]
	v_lshl_add_u32 v106, v18, 3, 0
	s_movk_i32 s2, 0x1f8
	ds_write2_b64 v106, v[14:15], v[12:13] offset1:4
	v_and_or_b32 v14, v77, s2, v79
	v_add_f64 v[12:13], v[0:1], -v[64:65]
	v_lshl_add_u32 v107, v14, 3, 0
	v_fma_f64 v[0:1], v[0:1], 2.0, -v[12:13]
	ds_write2_b64 v107, v[0:1], v[12:13] offset1:4
	v_and_or_b32 v12, v78, s2, v118
	s_movk_i32 s2, 0x3f8
	v_add_f64 v[0:1], v[2:3], -v[104:105]
	v_add_f64 v[14:15], v[6:7], -v[16:17]
	;; [unrolled: 1-line block ×3, first 2 shown]
	v_and_or_b32 v32, v75, s2, v122
	v_fma_f64 v[2:3], v[2:3], 2.0, -v[0:1]
	v_lshl_add_u32 v104, v12, 3, 0
	v_fma_f64 v[18:19], v[50:51], 2.0, -v[16:17]
	v_lshl_add_u32 v105, v32, 3, 0
	ds_write2_b64 v104, v[2:3], v[0:1] offset1:4
	ds_write2_b64 v105, v[18:19], v[16:17] offset1:4
	v_and_or_b32 v16, v74, s3, v123
	v_add_f64 v[24:25], v[44:45], -v[112:113]
	v_lshl_add_u32 v112, v16, 3, 0
	v_and_or_b32 v16, v66, s2, v120
	v_lshl_add_u32 v113, v16, 3, 0
	v_and_or_b32 v16, v73, s2, v121
	s_movk_i32 s2, 0x7f8
	v_add_f64 v[0:1], v[8:9], -v[30:31]
	v_add_f64 v[2:3], v[10:11], -v[20:21]
	;; [unrolled: 1-line block ×4, first 2 shown]
	v_lshl_add_u32 v73, v16, 3, 0
	v_and_or_b32 v16, v69, s2, v122
	v_fma_f64 v[8:9], v[8:9], 2.0, -v[0:1]
	v_add_f64 v[12:13], v[4:5], -v[22:23]
	v_fma_f64 v[22:23], v[48:49], 2.0, -v[20:21]
	v_fma_f64 v[26:27], v[44:45], 2.0, -v[24:25]
	;; [unrolled: 1-line block ×3, first 2 shown]
	v_lshl_add_u32 v118, v16, 3, 0
	s_movk_i32 s2, 0x4f8
	ds_write2_b64 v112, v[22:23], v[20:21] offset1:4
	ds_write2_b64 v113, v[26:27], v[24:25] offset1:4
	;; [unrolled: 1-line block ×4, first 2 shown]
	v_and_or_b32 v0, v67, s2, v68
	s_movk_i32 s2, 0x5f8
	v_lshl_add_u32 v119, v0, 3, 0
	v_and_or_b32 v0, v71, s2, v124
	v_add_f64 v[64:65], v[56:57], -v[38:39]
	v_lshl_add_u32 v120, v0, 3, 0
	v_and_or_b32 v0, v70, s2, v125
	v_fma_f64 v[10:11], v[10:11], 2.0, -v[2:3]
	v_fma_f64 v[4:5], v[4:5], 2.0, -v[12:13]
	;; [unrolled: 1-line block ×3, first 2 shown]
	v_lshl_add_u32 v121, v0, 3, 0
	v_fma_f64 v[44:45], v[56:57], 2.0, -v[64:65]
	ds_write2_b64 v119, v[10:11], v[2:3] offset1:4
	ds_write2_b64 v120, v[4:5], v[12:13] offset1:4
	;; [unrolled: 1-line block ×3, first 2 shown]
	s_waitcnt lgkmcnt(0)
	; wave barrier
	s_waitcnt lgkmcnt(0)
	ds_read2_b64 v[4:7], v143 offset1:63
	ds_read2_b64 v[36:39], v135 offset0:120 offset1:183
	ds_read2_b64 v[32:35], v146 offset0:112 offset1:175
	;; [unrolled: 1-line block ×7, first 2 shown]
	ds_read_b64 v[80:81], v140
	ds_read_b64 v[78:79], v151
	;; [unrolled: 1-line block ×4, first 2 shown]
	ds_read2_b64 v[12:15], v145 offset0:114 offset1:177
	ds_read2_b64 v[8:11], v148 offset0:106 offset1:169
	s_waitcnt lgkmcnt(0)
	; wave barrier
	s_waitcnt lgkmcnt(0)
	ds_write2_b64 v126, v[44:45], v[64:65] offset1:4
	v_add_f64 v[44:45], v[58:59], -v[110:111]
	v_add_f64 v[64:65], v[82:83], -v[114:115]
	v_fma_f64 v[46:47], v[58:59], 2.0, -v[44:45]
	v_add_f64 v[40:41], v[60:61], -v[40:41]
	v_fma_f64 v[66:67], v[82:83], 2.0, -v[64:65]
	v_add_f64 v[68:69], v[84:85], -v[92:93]
	v_add_f64 v[82:83], v[86:87], -v[94:95]
	ds_write2_b64 v106, v[46:47], v[44:45] offset1:4
	v_fma_f64 v[44:45], v[60:61], 2.0, -v[40:41]
	v_add_f64 v[42:43], v[62:63], -v[42:43]
	v_add_f64 v[48:49], v[98:99], -v[108:109]
	;; [unrolled: 1-line block ×5, first 2 shown]
	v_fma_f64 v[70:71], v[84:85], 2.0, -v[68:69]
	v_fma_f64 v[84:85], v[86:87], 2.0, -v[82:83]
	v_add_f64 v[86:87], v[88:89], -v[96:97]
	v_fma_f64 v[46:47], v[62:63], 2.0, -v[42:43]
	v_fma_f64 v[50:51], v[98:99], 2.0, -v[48:49]
	;; [unrolled: 1-line block ×6, first 2 shown]
	ds_write2_b64 v107, v[44:45], v[40:41] offset1:4
	ds_write2_b64 v104, v[46:47], v[42:43] offset1:4
	;; [unrolled: 1-line block ×10, first 2 shown]
	v_and_b32_e32 v73, 7, v152
	v_lshlrev_b32_e32 v40, 5, v73
	s_waitcnt lgkmcnt(0)
	; wave barrier
	s_waitcnt lgkmcnt(0)
	global_load_dwordx4 v[44:47], v40, s[4:5] offset:96
	s_nop 0
	global_load_dwordx4 v[40:43], v40, s[4:5] offset:112
	v_and_b32_e32 v126, 7, v138
	v_lshlrev_b32_e32 v56, 5, v126
	global_load_dwordx4 v[52:55], v56, s[4:5] offset:96
	global_load_dwordx4 v[48:51], v56, s[4:5] offset:112
	v_lshlrev_b32_e32 v82, 5, v127
	v_lshlrev_b32_e32 v83, 5, v128
	global_load_dwordx4 v[56:59], v82, s[4:5] offset:96
	global_load_dwordx4 v[68:71], v83, s[4:5] offset:96
	;; [unrolled: 1-line block ×4, first 2 shown]
	v_lshlrev_b32_e32 v82, 5, v130
	global_load_dwordx4 v[96:99], v82, s[4:5] offset:96
	global_load_dwordx4 v[108:111], v82, s[4:5] offset:112
	v_lshlrev_b32_e32 v82, 5, v129
	global_load_dwordx4 v[112:115], v82, s[4:5] offset:96
	global_load_dwordx4 v[116:119], v82, s[4:5] offset:112
	v_lshlrev_b32_e32 v82, 5, v131
	v_lshlrev_b32_e32 v83, 5, v139
	global_load_dwordx4 v[156:159], v82, s[4:5] offset:96
	global_load_dwordx4 v[162:165], v83, s[4:5] offset:96
	;; [unrolled: 1-line block ×4, first 2 shown]
	ds_read2_b64 v[82:85], v135 offset0:120 offset1:183
	ds_read2_b64 v[88:91], v146 offset0:112 offset1:175
	s_movk_i32 s2, 0xab
	s_movk_i32 s3, 0x240
	s_waitcnt vmcnt(15) lgkmcnt(1)
	v_mul_f64 v[122:123], v[82:83], v[46:47]
	v_fmac_f64_e32 v[122:123], v[36:37], v[44:45]
	v_mul_f64 v[36:37], v[36:37], v[46:47]
	s_waitcnt vmcnt(14) lgkmcnt(0)
	v_mul_f64 v[124:125], v[88:89], v[42:43]
	v_fma_f64 v[36:37], v[82:83], v[44:45], -v[36:37]
	v_fmac_f64_e32 v[124:125], v[32:33], v[40:41]
	s_waitcnt vmcnt(13)
	v_mul_f64 v[82:83], v[84:85], v[54:55]
	v_mul_f64 v[32:33], v[32:33], v[42:43]
	ds_read2_b64 v[42:45], v147 offset0:110 offset1:173
	v_fmac_f64_e32 v[82:83], v[38:39], v[52:53]
	v_mul_f64 v[38:39], v[38:39], v[54:55]
	v_fma_f64 v[86:87], v[84:85], v[52:53], -v[38:39]
	v_fma_f64 v[32:33], v[88:89], v[40:41], -v[32:33]
	ds_read2_b64 v[38:41], v149 offset0:118 offset1:181
	s_waitcnt vmcnt(9) lgkmcnt(1)
	v_mul_f64 v[94:95], v[42:43], v[66:67]
	v_fmac_f64_e32 v[94:95], v[24:25], v[64:65]
	v_mul_f64 v[24:25], v[24:25], v[66:67]
	v_mul_f64 v[88:89], v[90:91], v[50:51]
	s_waitcnt lgkmcnt(0)
	v_mul_f64 v[84:85], v[38:39], v[58:59]
	v_fma_f64 v[106:107], v[42:43], v[64:65], -v[24:25]
	s_waitcnt vmcnt(8)
	v_mul_f64 v[64:65], v[44:45], v[62:63]
	v_mul_f64 v[24:25], v[26:27], v[62:63]
	v_fmac_f64_e32 v[88:89], v[34:35], v[48:49]
	v_mul_f64 v[34:35], v[34:35], v[50:51]
	v_fmac_f64_e32 v[84:85], v[28:29], v[56:57]
	;; [unrolled: 2-line block ×3, first 2 shown]
	v_fma_f64 v[102:103], v[44:45], v[60:61], -v[24:25]
	ds_read2_b64 v[24:27], v132 offset0:108 offset1:171
	v_fma_f64 v[92:93], v[90:91], v[48:49], -v[34:35]
	v_fma_f64 v[90:91], v[38:39], v[56:57], -v[28:29]
	v_mul_f64 v[56:57], v[40:41], v[70:71]
	v_mul_f64 v[28:29], v[30:31], v[70:71]
	v_fmac_f64_e32 v[56:57], v[30:31], v[68:69]
	v_fma_f64 v[58:59], v[40:41], v[68:69], -v[28:29]
	ds_read2_b64 v[28:31], v144 offset0:116 offset1:179
	s_waitcnt vmcnt(6) lgkmcnt(1)
	v_mul_f64 v[68:69], v[24:25], v[110:111]
	v_fmac_f64_e32 v[68:69], v[16:17], v[108:109]
	v_mul_f64 v[16:17], v[16:17], v[110:111]
	v_fma_f64 v[108:109], v[24:25], v[108:109], -v[16:17]
	s_waitcnt lgkmcnt(0)
	v_mul_f64 v[60:61], v[28:29], v[98:99]
	s_waitcnt vmcnt(5)
	v_mul_f64 v[16:17], v[22:23], v[114:115]
	v_fmac_f64_e32 v[60:61], v[20:21], v[96:97]
	v_mul_f64 v[20:21], v[20:21], v[98:99]
	v_mul_f64 v[62:63], v[30:31], v[114:115]
	v_fma_f64 v[98:99], v[30:31], v[112:113], -v[16:17]
	s_waitcnt vmcnt(4)
	v_mul_f64 v[100:101], v[26:27], v[118:119]
	v_mul_f64 v[16:17], v[18:19], v[118:119]
	v_fmac_f64_e32 v[62:63], v[22:23], v[112:113]
	v_fmac_f64_e32 v[100:101], v[18:19], v[116:117]
	v_fma_f64 v[112:113], v[26:27], v[116:117], -v[16:17]
	ds_read2_b64 v[16:19], v148 offset0:106 offset1:169
	v_fma_f64 v[96:97], v[28:29], v[96:97], -v[20:21]
	ds_read2_b64 v[20:23], v145 offset0:114 offset1:177
	ds_read_b64 v[54:55], v140
	ds_read_b64 v[52:53], v151
	;; [unrolled: 1-line block ×4, first 2 shown]
	ds_read2_b64 v[44:47], v143 offset1:63
	ds_read2_b64 v[40:43], v143 offset0:126 offset1:189
	s_waitcnt vmcnt(1) lgkmcnt(7)
	v_mul_f64 v[116:117], v[16:17], v[168:169]
	v_fmac_f64_e32 v[116:117], v[8:9], v[166:167]
	s_waitcnt lgkmcnt(6)
	v_mul_f64 v[66:67], v[20:21], v[158:159]
	v_mul_f64 v[8:9], v[8:9], v[168:169]
	s_waitcnt vmcnt(0)
	v_mul_f64 v[114:115], v[18:19], v[172:173]
	v_fmac_f64_e32 v[66:67], v[12:13], v[156:157]
	v_mul_f64 v[12:13], v[12:13], v[158:159]
	v_fma_f64 v[120:121], v[16:17], v[166:167], -v[8:9]
	v_fmac_f64_e32 v[114:115], v[10:11], v[170:171]
	v_mul_f64 v[8:9], v[10:11], v[172:173]
	v_lshrrev_b32_e32 v10, 3, v152
	v_fma_f64 v[104:105], v[20:21], v[156:157], -v[12:13]
	v_mul_f64 v[12:13], v[14:15], v[164:165]
	v_mul_u32_u24_e32 v10, 24, v10
	v_fma_f64 v[110:111], v[22:23], v[162:163], -v[12:13]
	v_or_b32_e32 v12, v10, v73
	v_add_f64 v[10:11], v[122:123], v[124:125]
	v_fma_f64 v[118:119], v[18:19], v[170:171], -v[8:9]
	v_add_f64 v[8:9], v[4:5], v[122:123]
	v_fma_f64 v[4:5], -0.5, v[10:11], v[4:5]
	v_add_f64 v[10:11], v[36:37], -v[32:33]
	v_lshl_add_u32 v73, v12, 3, 0
	v_fma_f64 v[12:13], s[6:7], v[10:11], v[4:5]
	v_fmac_f64_e32 v[4:5], s[8:9], v[10:11]
	v_add_f64 v[8:9], v[8:9], v[124:125]
	s_waitcnt lgkmcnt(0)
	; wave barrier
	s_waitcnt lgkmcnt(0)
	ds_write_b64 v73, v[4:5] offset:128
	v_lshrrev_b32_e32 v4, 3, v138
	ds_write2_b64 v73, v[8:9], v[12:13] offset1:8
	v_add_f64 v[8:9], v[6:7], v[82:83]
	v_add_f64 v[10:11], v[82:83], v[88:89]
	v_mul_u32_u24_e32 v4, 24, v4
	v_fmac_f64_e32 v[6:7], -0.5, v[10:11]
	v_or_b32_e32 v10, v4, v126
	v_add_f64 v[4:5], v[8:9], v[88:89]
	v_add_f64 v[8:9], v[86:87], -v[92:93]
	v_lshl_add_u32 v153, v10, 3, 0
	v_fma_f64 v[10:11], s[6:7], v[8:9], v[6:7]
	v_fmac_f64_e32 v[6:7], s[8:9], v[8:9]
	ds_write2_b64 v153, v[4:5], v[10:11] offset1:8
	ds_write_b64 v153, v[6:7] offset:128
	v_mul_u32_u24_e32 v4, 24, v161
	v_add_f64 v[6:7], v[84:85], v[94:95]
	v_or_b32_e32 v8, v4, v127
	v_add_f64 v[4:5], v[0:1], v[84:85]
	v_fma_f64 v[0:1], -0.5, v[6:7], v[0:1]
	v_add_f64 v[6:7], v[90:91], -v[106:107]
	v_lshl_add_u32 v156, v8, 3, 0
	v_fma_f64 v[8:9], s[6:7], v[6:7], v[0:1]
	v_fmac_f64_e32 v[0:1], s[8:9], v[6:7]
	v_add_f64 v[4:5], v[4:5], v[94:95]
	ds_write_b64 v156, v[0:1] offset:128
	v_lshrrev_b32_e32 v0, 3, v160
	ds_write2_b64 v156, v[4:5], v[8:9] offset1:8
	v_add_f64 v[4:5], v[2:3], v[56:57]
	v_add_f64 v[6:7], v[56:57], v[64:65]
	v_mul_u32_u24_e32 v0, 24, v0
	v_fmac_f64_e32 v[2:3], -0.5, v[6:7]
	v_or_b32_e32 v6, v0, v128
	v_add_f64 v[0:1], v[4:5], v[64:65]
	v_add_f64 v[4:5], v[58:59], -v[102:103]
	v_lshl_add_u32 v128, v6, 3, 0
	v_fma_f64 v[6:7], s[6:7], v[4:5], v[2:3]
	v_fmac_f64_e32 v[2:3], s[8:9], v[4:5]
	v_add_f64 v[4:5], v[60:61], v[68:69]
	ds_write_b64 v128, v[2:3] offset:128
	v_add_f64 v[2:3], v[80:81], v[60:61]
	v_fmac_f64_e32 v[80:81], -0.5, v[4:5]
	v_add_f64 v[4:5], v[96:97], -v[108:109]
	ds_write2_b64 v128, v[0:1], v[6:7] offset1:8
	v_fma_f64 v[6:7], s[6:7], v[4:5], v[80:81]
	v_fmac_f64_e32 v[80:81], s[8:9], v[4:5]
	v_lshrrev_b32_e32 v4, 3, v137
	v_mul_u32_u24_e32 v4, 24, v4
	v_or_b32_e32 v4, v4, v130
	v_add_f64 v[2:3], v[2:3], v[68:69]
	v_lshl_add_u32 v130, v4, 3, 0
	v_add_f64 v[4:5], v[62:63], v[100:101]
	ds_write2_b64 v130, v[2:3], v[6:7] offset1:8
	v_add_f64 v[2:3], v[78:79], v[62:63]
	v_fmac_f64_e32 v[78:79], -0.5, v[4:5]
	v_add_f64 v[4:5], v[98:99], -v[112:113]
	v_add_f64 v[8:9], v[66:67], v[116:117]
	v_add_f64 v[0:1], v[44:45], v[36:37]
	v_fma_f64 v[6:7], s[6:7], v[4:5], v[78:79]
	v_fmac_f64_e32 v[78:79], s[8:9], v[4:5]
	v_add_f64 v[4:5], v[76:77], v[66:67]
	v_fmac_f64_e32 v[76:77], -0.5, v[8:9]
	v_lshrrev_b32_e32 v8, 3, v136
	v_add_f64 v[126:127], v[0:1], v[32:33]
	v_add_f64 v[0:1], v[36:37], v[32:33]
	v_mul_u32_u24_e32 v8, 24, v8
	v_or_b32_e32 v8, v8, v129
	v_fma_f64 v[44:45], -0.5, v[0:1], v[44:45]
	v_add_f64 v[0:1], v[4:5], v[116:117]
	v_lshrrev_b32_e32 v4, 3, v134
	v_add_f64 v[2:3], v[2:3], v[100:101]
	v_lshl_add_u32 v129, v8, 3, 0
	v_mul_u32_u24_e32 v4, 24, v4
	ds_write_b64 v130, v[80:81] offset:128
	ds_write2_b64 v129, v[2:3], v[6:7] offset1:8
	v_add_f64 v[2:3], v[104:105], -v[120:121]
	v_or_b32_e32 v4, v4, v131
	v_mul_f64 v[70:71], v[22:23], v[164:165]
	v_fma_f64 v[6:7], s[6:7], v[2:3], v[76:77]
	v_lshl_add_u32 v131, v4, 3, 0
	v_fmac_f64_e32 v[70:71], v[14:15], v[162:163]
	v_fmac_f64_e32 v[76:77], s[8:9], v[2:3]
	ds_write_b64 v129, v[78:79] offset:128
	ds_write2_b64 v131, v[0:1], v[6:7] offset1:8
	ds_write_b64 v131, v[76:77] offset:128
	v_lshrrev_b32_e32 v0, 3, v133
	v_add_f64 v[8:9], v[70:71], v[114:115]
	v_mul_u32_u24_e32 v0, 24, v0
	v_add_f64 v[122:123], v[122:123], -v[124:125]
	v_add_f64 v[2:3], v[74:75], v[70:71]
	v_fmac_f64_e32 v[74:75], -0.5, v[8:9]
	v_add_f64 v[8:9], v[110:111], -v[118:119]
	v_or_b32_e32 v0, v0, v139
	v_fma_f64 v[10:11], s[6:7], v[8:9], v[74:75]
	v_fmac_f64_e32 v[74:75], s[8:9], v[8:9]
	v_add_f64 v[2:3], v[2:3], v[114:115]
	v_lshl_add_u32 v139, v0, 3, 0
	v_fma_f64 v[124:125], s[8:9], v[122:123], v[44:45]
	v_fmac_f64_e32 v[44:45], s[6:7], v[122:123]
	ds_write2_b64 v139, v[2:3], v[10:11] offset1:8
	ds_write_b64 v139, v[74:75] offset:128
	s_waitcnt lgkmcnt(0)
	; wave barrier
	s_waitcnt lgkmcnt(0)
	ds_read2_b64 v[4:7], v143 offset1:63
	ds_read_b64 v[80:81], v140
	ds_read_b64 v[78:79], v151
	;; [unrolled: 1-line block ×4, first 2 shown]
	ds_read2_b64 v[36:39], v135 offset0:120 offset1:183
	ds_read2_b64 v[32:35], v146 offset0:112 offset1:175
	;; [unrolled: 1-line block ×9, first 2 shown]
	s_waitcnt lgkmcnt(0)
	; wave barrier
	s_waitcnt lgkmcnt(0)
	ds_write_b64 v73, v[44:45] offset:128
	v_add_f64 v[44:45], v[46:47], v[86:87]
	v_add_f64 v[86:87], v[86:87], v[92:93]
	v_fmac_f64_e32 v[46:47], -0.5, v[86:87]
	v_add_f64 v[82:83], v[82:83], -v[88:89]
	v_add_f64 v[44:45], v[44:45], v[92:93]
	v_fma_f64 v[86:87], s[8:9], v[82:83], v[46:47]
	v_fmac_f64_e32 v[46:47], s[6:7], v[82:83]
	v_add_f64 v[82:83], v[90:91], v[106:107]
	ds_write2_b64 v73, v[126:127], v[124:125] offset1:8
	ds_write2_b64 v153, v[44:45], v[86:87] offset1:8
	v_add_f64 v[44:45], v[40:41], v[90:91]
	v_add_f64 v[84:85], v[84:85], -v[94:95]
	v_fma_f64 v[40:41], -0.5, v[82:83], v[40:41]
	v_fma_f64 v[82:83], s[8:9], v[84:85], v[40:41]
	v_fmac_f64_e32 v[40:41], s[6:7], v[84:85]
	v_add_f64 v[84:85], v[42:43], v[58:59]
	v_add_f64 v[58:59], v[58:59], v[102:103]
	v_fmac_f64_e32 v[42:43], -0.5, v[58:59]
	v_add_f64 v[56:57], v[56:57], -v[64:65]
	v_add_f64 v[64:65], v[96:97], v[108:109]
	v_fma_f64 v[58:59], s[8:9], v[56:57], v[42:43]
	v_fmac_f64_e32 v[42:43], s[6:7], v[56:57]
	v_add_f64 v[56:57], v[54:55], v[96:97]
	v_fmac_f64_e32 v[54:55], -0.5, v[64:65]
	v_add_f64 v[60:61], v[60:61], -v[68:69]
	v_add_f64 v[68:69], v[98:99], v[112:113]
	v_fma_f64 v[64:65], s[8:9], v[60:61], v[54:55]
	v_fmac_f64_e32 v[54:55], s[6:7], v[60:61]
	;; [unrolled: 6-line block ×4, first 2 shown]
	v_add_f64 v[66:67], v[48:49], v[110:111]
	v_fmac_f64_e32 v[48:49], -0.5, v[88:89]
	v_add_f64 v[70:71], v[70:71], -v[114:115]
	v_add_f64 v[44:45], v[44:45], v[106:107]
	v_add_f64 v[84:85], v[84:85], v[102:103]
	;; [unrolled: 1-line block ×6, first 2 shown]
	v_fma_f64 v[88:89], s[8:9], v[70:71], v[48:49]
	v_fmac_f64_e32 v[48:49], s[6:7], v[70:71]
	ds_write_b64 v153, v[46:47] offset:128
	ds_write2_b64 v156, v[44:45], v[82:83] offset1:8
	ds_write_b64 v156, v[40:41] offset:128
	ds_write2_b64 v128, v[84:85], v[58:59] offset1:8
	;; [unrolled: 2-line block ×6, first 2 shown]
	ds_write_b64 v139, v[48:49] offset:128
	v_mul_lo_u16_sdwa v40, v152, s2 dst_sel:DWORD dst_unused:UNUSED_PAD src0_sel:BYTE_0 src1_sel:DWORD
	v_lshrrev_b16_e32 v122, 12, v40
	v_mul_lo_u16_e32 v40, 24, v122
	v_sub_u16_e32 v123, v152, v40
	v_mov_b32_e32 v120, 5
	v_lshlrev_b32_sdwa v56, v120, v123 dst_sel:DWORD dst_unused:UNUSED_PAD src0_sel:DWORD src1_sel:BYTE_0
	s_waitcnt lgkmcnt(0)
	; wave barrier
	s_waitcnt lgkmcnt(0)
	global_load_dwordx4 v[44:47], v56, s[4:5] offset:352
	v_mul_lo_u16_sdwa v40, v138, s2 dst_sel:DWORD dst_unused:UNUSED_PAD src0_sel:BYTE_0 src1_sel:DWORD
	v_lshrrev_b16_e32 v73, 12, v40
	v_mul_lo_u16_e32 v40, 24, v73
	v_sub_u16_e32 v121, v138, v40
	v_lshlrev_b32_sdwa v57, v120, v121 dst_sel:DWORD dst_unused:UNUSED_PAD src0_sel:DWORD src1_sel:BYTE_0
	global_load_dwordx4 v[52:55], v57, s[4:5] offset:352
	global_load_dwordx4 v[48:51], v56, s[4:5] offset:368
	;; [unrolled: 1-line block ×3, first 2 shown]
	v_mul_lo_u16_sdwa v56, v142, s2 dst_sel:DWORD dst_unused:UNUSED_PAD src0_sel:BYTE_0 src1_sel:DWORD
	v_lshrrev_b16_e32 v124, 12, v56
	v_mul_lo_u16_e32 v56, 24, v124
	v_sub_u16_e32 v125, v142, v56
	v_lshlrev_b32_sdwa v64, v120, v125 dst_sel:DWORD dst_unused:UNUSED_PAD src0_sel:DWORD src1_sel:BYTE_0
	global_load_dwordx4 v[60:63], v64, s[4:5] offset:352
	global_load_dwordx4 v[56:59], v64, s[4:5] offset:368
	v_mul_lo_u16_sdwa v64, v160, s2 dst_sel:DWORD dst_unused:UNUSED_PAD src0_sel:BYTE_0 src1_sel:DWORD
	v_lshrrev_b16_e32 v126, 12, v64
	v_mul_lo_u16_e32 v64, 24, v126
	v_sub_u16_e32 v127, v160, v64
	v_lshlrev_b32_sdwa v82, v120, v127 dst_sel:DWORD dst_unused:UNUSED_PAD src0_sel:DWORD src1_sel:BYTE_0
	s_mov_b32 s2, 0xaaab
	global_load_dwordx4 v[68:71], v82, s[4:5] offset:352
	global_load_dwordx4 v[64:67], v82, s[4:5] offset:368
	v_mul_u32_u24_sdwa v82, v137, s2 dst_sel:DWORD dst_unused:UNUSED_PAD src0_sel:WORD_0 src1_sel:DWORD
	v_lshrrev_b32_e32 v139, 20, v82
	v_mul_lo_u16_e32 v82, 24, v139
	v_mul_u32_u24_sdwa v83, v136, s2 dst_sel:DWORD dst_unused:UNUSED_PAD src0_sel:WORD_0 src1_sel:DWORD
	v_sub_u16_e32 v172, v137, v82
	v_lshrrev_b32_e32 v173, 20, v83
	v_lshlrev_b32_e32 v82, 5, v172
	v_mul_lo_u16_e32 v83, 24, v173
	global_load_dwordx4 v[90:93], v82, s[4:5] offset:352
	v_sub_u16_e32 v174, v136, v83
	v_lshlrev_b32_e32 v83, 5, v174
	global_load_dwordx4 v[98:101], v83, s[4:5] offset:352
	global_load_dwordx4 v[106:109], v82, s[4:5] offset:368
	;; [unrolled: 1-line block ×3, first 2 shown]
	v_mul_u32_u24_sdwa v82, v134, s2 dst_sel:DWORD dst_unused:UNUSED_PAD src0_sel:WORD_0 src1_sel:DWORD
	v_mul_u32_u24_sdwa v83, v133, s2 dst_sel:DWORD dst_unused:UNUSED_PAD src0_sel:WORD_0 src1_sel:DWORD
	v_lshrrev_b32_e32 v175, 20, v82
	v_lshrrev_b32_e32 v177, 20, v83
	v_mul_lo_u16_e32 v82, 24, v175
	v_mul_lo_u16_e32 v83, 24, v177
	v_sub_u16_e32 v176, v134, v82
	v_sub_u16_e32 v178, v133, v83
	v_lshlrev_b32_e32 v82, 5, v176
	v_lshlrev_b32_e32 v83, 5, v178
	global_load_dwordx4 v[116:119], v82, s[4:5] offset:352
	global_load_dwordx4 v[128:131], v83, s[4:5] offset:352
	;; [unrolled: 1-line block ×4, first 2 shown]
	ds_read2_b64 v[82:85], v135 offset0:120 offset1:183
	v_mov_b32_e32 v153, 3
	s_mov_b32 s2, 0x5040100
	s_waitcnt vmcnt(15) lgkmcnt(0)
	v_mul_f64 v[166:167], v[82:83], v[46:47]
	v_fmac_f64_e32 v[166:167], v[36:37], v[44:45]
	v_mul_f64 v[36:37], v[36:37], v[46:47]
	v_fma_f64 v[168:169], v[82:83], v[44:45], -v[36:37]
	ds_read2_b64 v[44:47], v146 offset0:112 offset1:175
	s_waitcnt vmcnt(14)
	v_mul_f64 v[82:83], v[84:85], v[54:55]
	v_mul_f64 v[36:37], v[38:39], v[54:55]
	v_fmac_f64_e32 v[82:83], v[38:39], v[52:53]
	v_fma_f64 v[54:55], v[84:85], v[52:53], -v[36:37]
	s_waitcnt vmcnt(13) lgkmcnt(0)
	v_mul_f64 v[170:171], v[44:45], v[50:51]
	v_fmac_f64_e32 v[170:171], v[32:33], v[48:49]
	v_mul_f64 v[32:33], v[32:33], v[50:51]
	v_fma_f64 v[32:33], v[44:45], v[48:49], -v[32:33]
	ds_read2_b64 v[48:51], v147 offset0:110 offset1:173
	ds_read2_b64 v[36:39], v149 offset0:118 offset1:181
	s_waitcnt vmcnt(12)
	v_mul_f64 v[86:87], v[46:47], v[42:43]
	v_fmac_f64_e32 v[86:87], v[34:35], v[40:41]
	v_mul_f64 v[34:35], v[34:35], v[42:43]
	s_waitcnt vmcnt(10) lgkmcnt(1)
	v_mul_f64 v[88:89], v[48:49], v[58:59]
	s_waitcnt lgkmcnt(0)
	v_mul_f64 v[84:85], v[36:37], v[62:63]
	v_fmac_f64_e32 v[88:89], v[24:25], v[56:57]
	v_mul_f64 v[24:25], v[24:25], v[58:59]
	v_fmac_f64_e32 v[84:85], v[28:29], v[60:61]
	v_mul_f64 v[28:29], v[28:29], v[62:63]
	v_fma_f64 v[94:95], v[48:49], v[56:57], -v[24:25]
	s_waitcnt vmcnt(9)
	v_mul_f64 v[56:57], v[38:39], v[70:71]
	v_mul_f64 v[24:25], v[30:31], v[70:71]
	v_fma_f64 v[62:63], v[36:37], v[60:61], -v[28:29]
	v_fmac_f64_e32 v[56:57], v[30:31], v[68:69]
	v_fma_f64 v[68:69], v[38:39], v[68:69], -v[24:25]
	ds_read2_b64 v[28:31], v144 offset0:116 offset1:179
	s_waitcnt vmcnt(8)
	v_mul_f64 v[70:71], v[50:51], v[66:67]
	v_mul_f64 v[24:25], v[26:27], v[66:67]
	v_fmac_f64_e32 v[70:71], v[26:27], v[64:65]
	v_fma_f64 v[102:103], v[50:51], v[64:65], -v[24:25]
	ds_read2_b64 v[24:27], v132 offset0:108 offset1:171
	s_waitcnt vmcnt(7) lgkmcnt(1)
	v_mul_f64 v[60:61], v[28:29], v[92:93]
	v_fmac_f64_e32 v[60:61], v[20:21], v[90:91]
	v_mul_f64 v[20:21], v[20:21], v[92:93]
	v_fma_f64 v[92:93], v[28:29], v[90:91], -v[20:21]
	s_waitcnt vmcnt(5) lgkmcnt(0)
	v_mul_f64 v[104:105], v[24:25], v[108:109]
	v_mul_f64 v[58:59], v[30:31], v[100:101]
	;; [unrolled: 1-line block ×3, first 2 shown]
	v_fmac_f64_e32 v[104:105], v[16:17], v[106:107]
	v_mul_f64 v[16:17], v[16:17], v[108:109]
	v_fmac_f64_e32 v[58:59], v[22:23], v[98:99]
	v_fma_f64 v[66:67], v[30:31], v[98:99], -v[20:21]
	v_fma_f64 v[114:115], v[24:25], v[106:107], -v[16:17]
	s_waitcnt vmcnt(4)
	v_mul_f64 v[98:99], v[26:27], v[112:113]
	v_mul_f64 v[16:17], v[18:19], v[112:113]
	v_fmac_f64_e32 v[98:99], v[18:19], v[110:111]
	v_fma_f64 v[110:111], v[26:27], v[110:111], -v[16:17]
	ds_read2_b64 v[16:19], v148 offset0:106 offset1:169
	ds_read2_b64 v[20:23], v145 offset0:114 offset1:177
	v_fma_f64 v[96:97], v[46:47], v[40:41], -v[34:35]
	s_waitcnt vmcnt(1) lgkmcnt(1)
	v_mul_f64 v[112:113], v[16:17], v[158:159]
	s_waitcnt lgkmcnt(0)
	v_mul_f64 v[90:91], v[20:21], v[118:119]
	v_fmac_f64_e32 v[112:113], v[8:9], v[156:157]
	v_mul_f64 v[8:9], v[8:9], v[158:159]
	v_fmac_f64_e32 v[90:91], v[12:13], v[116:117]
	v_mul_f64 v[12:13], v[12:13], v[118:119]
	v_fma_f64 v[118:119], v[16:17], v[156:157], -v[8:9]
	s_waitcnt vmcnt(0)
	v_mul_f64 v[108:109], v[18:19], v[164:165]
	v_mul_f64 v[8:9], v[10:11], v[164:165]
	v_fma_f64 v[106:107], v[20:21], v[116:117], -v[12:13]
	v_fmac_f64_e32 v[108:109], v[10:11], v[162:163]
	v_fma_f64 v[116:117], v[18:19], v[162:163], -v[8:9]
	v_mul_u32_u24_e32 v8, 0x240, v122
	v_lshlrev_b32_sdwa v9, v153, v123 dst_sel:DWORD dst_unused:UNUSED_PAD src0_sel:DWORD src1_sel:BYTE_0
	v_add_f64 v[10:11], v[166:167], v[170:171]
	v_mul_f64 v[12:13], v[14:15], v[130:131]
	v_add3_u32 v156, 0, v8, v9
	v_add_f64 v[8:9], v[4:5], v[166:167]
	v_fma_f64 v[4:5], -0.5, v[10:11], v[4:5]
	v_add_f64 v[10:11], v[168:169], -v[32:33]
	v_mul_f64 v[64:65], v[22:23], v[130:131]
	v_fma_f64 v[100:101], v[22:23], v[128:129], -v[12:13]
	v_add_f64 v[8:9], v[8:9], v[170:171]
	v_fma_f64 v[12:13], s[6:7], v[10:11], v[4:5]
	v_fmac_f64_e32 v[4:5], s[8:9], v[10:11]
	v_fmac_f64_e32 v[64:65], v[14:15], v[128:129]
	ds_read_b64 v[52:53], v140
	ds_read_b64 v[50:51], v151
	;; [unrolled: 1-line block ×4, first 2 shown]
	ds_read2_b64 v[128:131], v143 offset1:63
	ds_read2_b64 v[42:45], v143 offset0:126 offset1:189
	s_waitcnt lgkmcnt(0)
	; wave barrier
	s_waitcnt lgkmcnt(0)
	ds_write2_b64 v156, v[8:9], v[12:13] offset1:24
	v_add_f64 v[8:9], v[6:7], v[82:83]
	v_add_f64 v[10:11], v[82:83], v[86:87]
	ds_write_b64 v156, v[4:5] offset:384
	v_mul_u32_u24_e32 v4, 0x240, v73
	v_lshlrev_b32_sdwa v5, v153, v121 dst_sel:DWORD dst_unused:UNUSED_PAD src0_sel:DWORD src1_sel:BYTE_0
	v_fmac_f64_e32 v[6:7], -0.5, v[10:11]
	v_add3_u32 v73, 0, v4, v5
	v_add_f64 v[4:5], v[8:9], v[86:87]
	v_add_f64 v[8:9], v[54:55], -v[96:97]
	v_fma_f64 v[10:11], s[6:7], v[8:9], v[6:7]
	v_fmac_f64_e32 v[6:7], s[8:9], v[8:9]
	ds_write2_b64 v73, v[4:5], v[10:11] offset1:24
	ds_write_b64 v73, v[6:7] offset:384
	v_mul_u32_u24_e32 v4, 0x240, v124
	v_lshlrev_b32_sdwa v5, v153, v125 dst_sel:DWORD dst_unused:UNUSED_PAD src0_sel:DWORD src1_sel:BYTE_0
	v_add_f64 v[6:7], v[84:85], v[88:89]
	v_add3_u32 v121, 0, v4, v5
	v_add_f64 v[4:5], v[0:1], v[84:85]
	v_fma_f64 v[0:1], -0.5, v[6:7], v[0:1]
	v_add_f64 v[6:7], v[62:63], -v[94:95]
	v_add_f64 v[4:5], v[4:5], v[88:89]
	v_fma_f64 v[8:9], s[6:7], v[6:7], v[0:1]
	v_fmac_f64_e32 v[0:1], s[8:9], v[6:7]
	ds_write2_b64 v121, v[4:5], v[8:9] offset1:24
	v_add_f64 v[4:5], v[2:3], v[56:57]
	v_add_f64 v[6:7], v[56:57], v[70:71]
	ds_write_b64 v121, v[0:1] offset:384
	v_mul_u32_u24_e32 v0, 0x240, v126
	v_lshlrev_b32_sdwa v1, v153, v127 dst_sel:DWORD dst_unused:UNUSED_PAD src0_sel:DWORD src1_sel:BYTE_0
	v_fmac_f64_e32 v[2:3], -0.5, v[6:7]
	v_add3_u32 v157, 0, v0, v1
	v_add_f64 v[0:1], v[4:5], v[70:71]
	v_add_f64 v[4:5], v[68:69], -v[102:103]
	v_fma_f64 v[6:7], s[6:7], v[4:5], v[2:3]
	v_fmac_f64_e32 v[2:3], s[8:9], v[4:5]
	ds_write_b64 v157, v[2:3] offset:384
	v_add_f64 v[2:3], v[60:61], v[104:105]
	ds_write2_b64 v157, v[0:1], v[6:7] offset1:24
	v_add_f64 v[0:1], v[80:81], v[60:61]
	v_fmac_f64_e32 v[80:81], -0.5, v[2:3]
	v_perm_b32 v2, v173, v139, s2
	v_pk_mul_lo_u16 v6, v2, s3 op_sel_hi:[1,0]
	v_lshlrev_b32_e32 v2, 3, v172
	v_and_b32_e32 v3, 0xffc0, v6
	v_add3_u32 v139, 0, v3, v2
	v_add_f64 v[2:3], v[92:93], -v[114:115]
	v_add_f64 v[0:1], v[0:1], v[104:105]
	v_fma_f64 v[4:5], s[6:7], v[2:3], v[80:81]
	v_fmac_f64_e32 v[80:81], s[8:9], v[2:3]
	v_add_f64 v[2:3], v[58:59], v[98:99]
	ds_write2_b64 v139, v[0:1], v[4:5] offset1:24
	v_add_f64 v[0:1], v[78:79], v[58:59]
	v_fmac_f64_e32 v[78:79], -0.5, v[2:3]
	v_lshrrev_b32_e32 v2, 16, v6
	v_lshlrev_b32_e32 v3, 3, v174
	v_add3_u32 v158, 0, v2, v3
	v_add_f64 v[2:3], v[66:67], -v[110:111]
	v_add_f64 v[0:1], v[0:1], v[98:99]
	v_fma_f64 v[4:5], s[6:7], v[2:3], v[78:79]
	ds_write_b64 v139, v[80:81] offset:384
	ds_write2_b64 v158, v[0:1], v[4:5] offset1:24
	v_add_f64 v[4:5], v[90:91], v[112:113]
	v_fmac_f64_e32 v[78:79], s[8:9], v[2:3]
	v_add_f64 v[2:3], v[76:77], v[90:91]
	v_fmac_f64_e32 v[76:77], -0.5, v[4:5]
	v_add_f64 v[4:5], v[106:107], -v[118:119]
	v_add_f64 v[8:9], v[64:65], v[108:109]
	v_fma_f64 v[6:7], s[6:7], v[4:5], v[76:77]
	v_fmac_f64_e32 v[76:77], s[8:9], v[4:5]
	v_add_f64 v[4:5], v[74:75], v[64:65]
	v_fmac_f64_e32 v[74:75], -0.5, v[8:9]
	v_perm_b32 v8, v177, v175, s2
	v_add_f64 v[0:1], v[128:129], v[168:169]
	v_pk_mul_lo_u16 v8, v8, s3 op_sel_hi:[1,0]
	v_add_f64 v[80:81], v[0:1], v[32:33]
	v_add_f64 v[0:1], v[168:169], v[32:33]
	v_lshlrev_b32_e32 v9, 3, v176
	v_and_b32_e32 v10, 0xffc0, v8
	v_add3_u32 v159, 0, v10, v9
	v_fma_f64 v[124:125], -0.5, v[0:1], v[128:129]
	v_add_f64 v[0:1], v[2:3], v[112:113]
	ds_write_b64 v158, v[78:79] offset:384
	ds_write2_b64 v159, v[0:1], v[6:7] offset1:24
	v_add_f64 v[0:1], v[100:101], -v[116:117]
	v_add_f64 v[122:123], v[166:167], -v[170:171]
	v_add_f64 v[2:3], v[4:5], v[108:109]
	v_fma_f64 v[4:5], s[6:7], v[0:1], v[74:75]
	v_fmac_f64_e32 v[74:75], s[8:9], v[0:1]
	v_lshrrev_b32_e32 v0, 16, v8
	v_lshlrev_b32_e32 v1, 3, v178
	v_add3_u32 v128, 0, v0, v1
	v_fma_f64 v[126:127], s[8:9], v[122:123], v[124:125]
	ds_write_b64 v159, v[76:77] offset:384
	ds_write2_b64 v128, v[2:3], v[4:5] offset1:24
	ds_write_b64 v128, v[74:75] offset:384
	s_waitcnt lgkmcnt(0)
	; wave barrier
	s_waitcnt lgkmcnt(0)
	ds_read2_b64 v[10:13], v143 offset1:63
	ds_read2_b64 v[38:41], v135 offset0:120 offset1:183
	ds_read2_b64 v[34:37], v146 offset0:112 offset1:175
	;; [unrolled: 1-line block ×9, first 2 shown]
	ds_read_b64 v[78:79], v140
	ds_read_b64 v[76:77], v151
	;; [unrolled: 1-line block ×4, first 2 shown]
	s_waitcnt lgkmcnt(0)
	; wave barrier
	s_waitcnt lgkmcnt(0)
	ds_write2_b64 v156, v[80:81], v[126:127] offset1:24
	v_add_f64 v[80:81], v[130:131], v[54:55]
	v_add_f64 v[54:55], v[54:55], v[96:97]
	v_fmac_f64_e32 v[130:131], -0.5, v[54:55]
	v_add_f64 v[54:55], v[82:83], -v[86:87]
	v_fmac_f64_e32 v[124:125], s[6:7], v[122:123]
	v_add_f64 v[80:81], v[80:81], v[96:97]
	v_fma_f64 v[82:83], s[8:9], v[54:55], v[130:131]
	v_fmac_f64_e32 v[130:131], s[6:7], v[54:55]
	v_add_f64 v[54:55], v[42:43], v[62:63]
	v_add_f64 v[62:63], v[62:63], v[94:95]
	ds_write_b64 v156, v[124:125] offset:384
	ds_write2_b64 v73, v[80:81], v[82:83] offset1:24
	v_add_f64 v[80:81], v[84:85], -v[88:89]
	v_fma_f64 v[42:43], -0.5, v[62:63], v[42:43]
	v_fma_f64 v[62:63], s[8:9], v[80:81], v[42:43]
	v_fmac_f64_e32 v[42:43], s[6:7], v[80:81]
	v_add_f64 v[80:81], v[44:45], v[68:69]
	v_add_f64 v[68:69], v[68:69], v[102:103]
	v_fmac_f64_e32 v[44:45], -0.5, v[68:69]
	v_add_f64 v[56:57], v[56:57], -v[70:71]
	v_add_f64 v[70:71], v[92:93], v[114:115]
	v_fma_f64 v[68:69], s[8:9], v[56:57], v[44:45]
	v_fmac_f64_e32 v[44:45], s[6:7], v[56:57]
	v_add_f64 v[56:57], v[52:53], v[92:93]
	v_fmac_f64_e32 v[52:53], -0.5, v[70:71]
	v_add_f64 v[60:61], v[60:61], -v[104:105]
	v_fma_f64 v[70:71], s[8:9], v[60:61], v[52:53]
	v_fmac_f64_e32 v[52:53], s[6:7], v[60:61]
	v_add_f64 v[60:61], v[50:51], v[66:67]
	v_add_f64 v[66:67], v[66:67], v[110:111]
	v_fmac_f64_e32 v[50:51], -0.5, v[66:67]
	v_add_f64 v[58:59], v[58:59], -v[98:99]
	v_add_f64 v[82:83], v[106:107], v[118:119]
	v_fma_f64 v[66:67], s[8:9], v[58:59], v[50:51]
	v_fmac_f64_e32 v[50:51], s[6:7], v[58:59]
	v_add_f64 v[58:59], v[48:49], v[106:107]
	v_fmac_f64_e32 v[48:49], -0.5, v[82:83]
	v_add_f64 v[82:83], v[90:91], -v[112:113]
	v_add_f64 v[86:87], v[100:101], v[116:117]
	ds_write_b64 v73, v[130:131] offset:384
	v_add_f64 v[54:55], v[54:55], v[94:95]
	v_fma_f64 v[84:85], s[8:9], v[82:83], v[48:49]
	v_fmac_f64_e32 v[48:49], s[6:7], v[82:83]
	v_add_f64 v[82:83], v[46:47], v[100:101]
	v_fmac_f64_e32 v[46:47], -0.5, v[86:87]
	v_add_f64 v[64:65], v[64:65], -v[108:109]
	v_mov_b32_e32 v73, 0
	v_add_f64 v[80:81], v[80:81], v[102:103]
	v_add_f64 v[56:57], v[56:57], v[114:115]
	;; [unrolled: 1-line block ×5, first 2 shown]
	v_fma_f64 v[86:87], s[8:9], v[64:65], v[46:47]
	v_fmac_f64_e32 v[46:47], s[6:7], v[64:65]
	ds_write2_b64 v121, v[54:55], v[62:63] offset1:24
	ds_write_b64 v121, v[42:43] offset:384
	ds_write2_b64 v157, v[80:81], v[68:69] offset1:24
	ds_write_b64 v157, v[44:45] offset:384
	;; [unrolled: 2-line block ×6, first 2 shown]
	v_lshl_add_u64 v[42:43], v[72:73], 4, s[4:5]
	v_add_u32_e32 v50, -9, v152
	s_waitcnt lgkmcnt(0)
	; wave barrier
	s_waitcnt lgkmcnt(0)
	global_load_dwordx4 v[46:49], v[42:43], off offset:1120
	s_nop 0
	global_load_dwordx4 v[42:45], v[42:43], off offset:1136
	v_cndmask_b32_e32 v106, v50, v138, vcc
	v_lshlrev_b32_e32 v72, 1, v106
	v_lshl_add_u64 v[58:59], v[72:73], 4, s[4:5]
	v_mov_b32_e32 v62, 57
	global_load_dwordx4 v[54:57], v[58:59], off offset:1120
	global_load_dwordx4 v[50:53], v[58:59], off offset:1136
	v_mul_lo_u16_sdwa v58, v142, v62 dst_sel:DWORD dst_unused:UNUSED_PAD src0_sel:BYTE_0 src1_sel:DWORD
	v_lshrrev_b16_e32 v107, 12, v58
	v_mul_lo_u16_e32 v58, 0x48, v107
	v_mul_lo_u16_sdwa v62, v160, v62 dst_sel:DWORD dst_unused:UNUSED_PAD src0_sel:BYTE_0 src1_sel:DWORD
	v_sub_u16_e32 v116, v142, v58
	v_lshrrev_b16_e32 v117, 12, v62
	v_lshlrev_b32_sdwa v80, v120, v116 dst_sel:DWORD dst_unused:UNUSED_PAD src0_sel:DWORD src1_sel:BYTE_0
	v_mul_lo_u16_e32 v62, 0x48, v117
	global_load_dwordx4 v[58:61], v80, s[4:5] offset:1120
	v_sub_u16_e32 v170, v160, v62
	v_lshlrev_b32_sdwa v81, v120, v170 dst_sel:DWORD dst_unused:UNUSED_PAD src0_sel:DWORD src1_sel:BYTE_0
	s_mov_b32 s2, 0xe38f
	global_load_dwordx4 v[70:73], v81, s[4:5] offset:1120
	global_load_dwordx4 v[66:69], v80, s[4:5] offset:1136
	;; [unrolled: 1-line block ×3, first 2 shown]
	v_mul_u32_u24_sdwa v80, v137, s2 dst_sel:DWORD dst_unused:UNUSED_PAD src0_sel:WORD_0 src1_sel:DWORD
	v_lshrrev_b32_e32 v171, 22, v80
	v_mul_lo_u16_e32 v80, 0x48, v171
	v_sub_u16_e32 v172, v137, v80
	v_lshlrev_b32_e32 v80, 5, v172
	global_load_dwordx4 v[96:99], v80, s[4:5] offset:1120
	global_load_dwordx4 v[100:103], v80, s[4:5] offset:1136
	v_mul_u32_u24_sdwa v80, v136, s2 dst_sel:DWORD dst_unused:UNUSED_PAD src0_sel:WORD_0 src1_sel:DWORD
	v_lshrrev_b32_e32 v173, 22, v80
	v_mul_lo_u16_e32 v80, 0x48, v173
	v_sub_u16_e32 v174, v136, v80
	v_lshlrev_b32_e32 v80, 5, v174
	global_load_dwordx4 v[108:111], v80, s[4:5] offset:1120
	global_load_dwordx4 v[112:115], v80, s[4:5] offset:1136
	v_mul_u32_u24_sdwa v80, v134, s2 dst_sel:DWORD dst_unused:UNUSED_PAD src0_sel:WORD_0 src1_sel:DWORD
	v_lshrrev_b32_e32 v175, 22, v80
	v_mul_lo_u16_e32 v80, 0x48, v175
	v_sub_u16_e32 v176, v134, v80
	v_lshlrev_b32_e32 v80, 5, v176
	v_mul_u32_u24_sdwa v81, v133, s2 dst_sel:DWORD dst_unused:UNUSED_PAD src0_sel:WORD_0 src1_sel:DWORD
	global_load_dwordx4 v[136:139], v80, s[4:5] offset:1120
	v_lshrrev_b32_e32 v81, 22, v81
	v_mul_lo_u16_e32 v81, 0x48, v81
	v_sub_u16_e32 v177, v133, v81
	v_lshlrev_b32_e32 v81, 5, v177
	global_load_dwordx4 v[156:159], v81, s[4:5] offset:1120
	global_load_dwordx4 v[162:165], v80, s[4:5] offset:1136
	;; [unrolled: 1-line block ×3, first 2 shown]
	ds_read2_b64 v[86:89], v135 offset0:120 offset1:183
	ds_read2_b64 v[92:95], v146 offset0:112 offset1:175
	v_cmp_lt_u32_e32 vcc, 8, v152
	v_cmp_gt_u32_e64 s[2:3], 27, v152
	s_waitcnt vmcnt(15) lgkmcnt(1)
	v_mul_f64 v[82:83], v[86:87], v[48:49]
	v_fmac_f64_e32 v[82:83], v[38:39], v[46:47]
	v_mul_f64 v[38:39], v[38:39], v[48:49]
	v_fma_f64 v[90:91], v[86:87], v[46:47], -v[38:39]
	s_waitcnt vmcnt(14) lgkmcnt(0)
	v_mul_f64 v[86:87], v[92:93], v[44:45]
	v_fmac_f64_e32 v[86:87], v[34:35], v[42:43]
	v_mul_f64 v[34:35], v[34:35], v[44:45]
	s_waitcnt vmcnt(13)
	v_mul_f64 v[80:81], v[88:89], v[56:57]
	v_fma_f64 v[122:123], v[92:93], v[42:43], -v[34:35]
	v_fmac_f64_e32 v[80:81], v[40:41], v[54:55]
	v_mul_f64 v[34:35], v[40:41], v[56:57]
	ds_read2_b64 v[38:41], v149 offset0:118 offset1:181
	v_fma_f64 v[92:93], v[88:89], v[54:55], -v[34:35]
	s_waitcnt vmcnt(12)
	v_mul_f64 v[88:89], v[94:95], v[52:53]
	v_mul_f64 v[34:35], v[36:37], v[52:53]
	v_fmac_f64_e32 v[88:89], v[36:37], v[50:51]
	v_fma_f64 v[124:125], v[94:95], v[50:51], -v[34:35]
	ds_read2_b64 v[34:37], v147 offset0:110 offset1:173
	s_waitcnt vmcnt(11) lgkmcnt(1)
	v_mul_f64 v[84:85], v[38:39], v[60:61]
	v_fmac_f64_e32 v[84:85], v[30:31], v[58:59]
	v_mul_f64 v[30:31], v[30:31], v[60:61]
	v_fma_f64 v[94:95], v[38:39], v[58:59], -v[30:31]
	s_waitcnt vmcnt(10)
	v_mul_f64 v[56:57], v[40:41], v[72:73]
	v_mul_f64 v[30:31], v[32:33], v[72:73]
	s_waitcnt vmcnt(9) lgkmcnt(0)
	v_mul_f64 v[126:127], v[34:35], v[68:69]
	v_fmac_f64_e32 v[56:57], v[32:33], v[70:71]
	v_fma_f64 v[70:71], v[40:41], v[70:71], -v[30:31]
	ds_read2_b64 v[30:33], v144 offset0:116 offset1:179
	v_fmac_f64_e32 v[126:127], v[26:27], v[66:67]
	v_mul_f64 v[26:27], v[26:27], v[68:69]
	v_fma_f64 v[134:135], v[34:35], v[66:67], -v[26:27]
	s_waitcnt vmcnt(8)
	v_mul_f64 v[72:73], v[36:37], v[64:65]
	v_mul_f64 v[26:27], v[28:29], v[64:65]
	v_fmac_f64_e32 v[72:73], v[28:29], v[62:63]
	v_fma_f64 v[128:129], v[36:37], v[62:63], -v[26:27]
	ds_read2_b64 v[26:29], v132 offset0:108 offset1:171
	s_waitcnt vmcnt(7) lgkmcnt(1)
	v_mul_f64 v[62:63], v[30:31], v[98:99]
	v_fmac_f64_e32 v[62:63], v[22:23], v[96:97]
	v_mul_f64 v[22:23], v[22:23], v[98:99]
	v_fma_f64 v[118:119], v[30:31], v[96:97], -v[22:23]
	s_waitcnt vmcnt(6) lgkmcnt(0)
	v_mul_f64 v[96:97], v[26:27], v[102:103]
	v_fmac_f64_e32 v[96:97], v[18:19], v[100:101]
	v_mul_f64 v[18:19], v[18:19], v[102:103]
	s_waitcnt vmcnt(5)
	v_mul_f64 v[58:59], v[32:33], v[110:111]
	v_fma_f64 v[130:131], v[26:27], v[100:101], -v[18:19]
	v_fmac_f64_e32 v[58:59], v[24:25], v[108:109]
	v_mul_f64 v[18:19], v[24:25], v[110:111]
	ds_read2_b64 v[22:25], v145 offset0:114 offset1:177
	v_fma_f64 v[102:103], v[32:33], v[108:109], -v[18:19]
	s_waitcnt vmcnt(4)
	v_mul_f64 v[18:19], v[20:21], v[114:115]
	v_mul_f64 v[98:99], v[28:29], v[114:115]
	v_fma_f64 v[132:133], v[28:29], v[112:113], -v[18:19]
	ds_read2_b64 v[26:29], v148 offset0:106 offset1:169
	s_waitcnt vmcnt(3) lgkmcnt(1)
	v_mul_f64 v[60:61], v[22:23], v[138:139]
	v_fmac_f64_e32 v[60:61], v[14:15], v[136:137]
	v_mul_f64 v[14:15], v[14:15], v[138:139]
	v_fma_f64 v[104:105], v[22:23], v[136:137], -v[14:15]
	s_waitcnt vmcnt(2)
	v_mul_f64 v[22:23], v[24:25], v[158:159]
	v_fmac_f64_e32 v[22:23], v[16:17], v[156:157]
	v_mul_f64 v[14:15], v[16:17], v[158:159]
	s_waitcnt vmcnt(1) lgkmcnt(0)
	v_mul_f64 v[16:17], v[26:27], v[164:165]
	v_fmac_f64_e32 v[16:17], v[2:3], v[162:163]
	v_mul_f64 v[2:3], v[2:3], v[164:165]
	s_waitcnt vmcnt(0)
	v_mul_f64 v[120:121], v[28:29], v[168:169]
	v_fma_f64 v[138:139], v[26:27], v[162:163], -v[2:3]
	v_fmac_f64_e32 v[120:121], v[4:5], v[166:167]
	v_mul_f64 v[2:3], v[4:5], v[168:169]
	v_add_f64 v[4:5], v[82:83], v[86:87]
	v_fma_f64 v[100:101], v[24:25], v[156:157], -v[14:15]
	v_fma_f64 v[136:137], v[28:29], v[166:167], -v[2:3]
	v_add_f64 v[2:3], v[10:11], v[82:83]
	v_fma_f64 v[10:11], -0.5, v[4:5], v[10:11]
	v_add_f64 v[14:15], v[90:91], -v[122:123]
	v_fma_f64 v[24:25], s[6:7], v[14:15], v[10:11]
	v_fmac_f64_e32 v[10:11], s[8:9], v[14:15]
	v_fmac_f64_e32 v[98:99], v[20:21], v[112:113]
	ds_read2_b64 v[18:21], v143 offset1:63
	ds_read_b64 v[68:69], v140
	ds_read_b64 v[66:67], v151
	;; [unrolled: 1-line block ×4, first 2 shown]
	ds_read2_b64 v[52:55], v143 offset0:126 offset1:189
	s_waitcnt lgkmcnt(0)
	; wave barrier
	s_waitcnt lgkmcnt(0)
	ds_write_b64 v143, v[10:11] offset:1152
	v_mov_b32_e32 v10, 0x6c0
	v_add_f64 v[2:3], v[2:3], v[86:87]
	v_add_f64 v[14:15], v[80:81], v[88:89]
	v_cndmask_b32_e32 v10, 0, v10, vcc
	v_lshlrev_b32_e32 v11, 3, v106
	ds_write2_b64 v143, v[2:3], v[24:25] offset1:72
	v_add_f64 v[2:3], v[12:13], v[80:81]
	v_fmac_f64_e32 v[12:13], -0.5, v[14:15]
	v_add3_u32 v150, 0, v10, v11
	v_add_f64 v[10:11], v[92:93], -v[124:125]
	v_fma_f64 v[14:15], s[6:7], v[10:11], v[12:13]
	v_fmac_f64_e32 v[12:13], s[8:9], v[10:11]
	v_mul_u32_u24_e32 v10, 0x6c0, v107
	v_lshlrev_b32_sdwa v11, v153, v116 dst_sel:DWORD dst_unused:UNUSED_PAD src0_sel:DWORD src1_sel:BYTE_0
	v_add_f64 v[2:3], v[2:3], v[88:89]
	v_add3_u32 v151, 0, v10, v11
	v_add_f64 v[10:11], v[84:85], v[126:127]
	ds_write2_b64 v150, v[2:3], v[14:15] offset1:72
	v_add_f64 v[2:3], v[6:7], v[84:85]
	v_fma_f64 v[6:7], -0.5, v[10:11], v[6:7]
	v_add_f64 v[10:11], v[94:95], -v[134:135]
	ds_write_b64 v150, v[12:13] offset:1152
	v_add_f64 v[2:3], v[2:3], v[126:127]
	v_fma_f64 v[12:13], s[6:7], v[10:11], v[6:7]
	v_fmac_f64_e32 v[6:7], s[8:9], v[10:11]
	v_add_f64 v[10:11], v[56:57], v[72:73]
	ds_write2_b64 v151, v[2:3], v[12:13] offset1:72
	v_add_f64 v[2:3], v[8:9], v[56:57]
	v_fmac_f64_e32 v[8:9], -0.5, v[10:11]
	v_add_f64 v[10:11], v[70:71], -v[128:129]
	ds_write_b64 v151, v[6:7] offset:1152
	v_lshlrev_b32_sdwa v6, v153, v170 dst_sel:DWORD dst_unused:UNUSED_PAD src0_sel:DWORD src1_sel:BYTE_0
	v_mul_u32_u24_e32 v7, 0x6c0, v117
	v_fma_f64 v[12:13], s[6:7], v[10:11], v[8:9]
	v_add_f64 v[14:15], v[62:63], v[96:97]
	v_add3_u32 v6, 0, v7, v6
	v_add_f64 v[2:3], v[2:3], v[72:73]
	v_fmac_f64_e32 v[8:9], s[8:9], v[10:11]
	v_add_f64 v[10:11], v[78:79], v[62:63]
	v_fmac_f64_e32 v[78:79], -0.5, v[14:15]
	ds_write2_b64 v6, v[2:3], v[12:13] offset1:72
	v_add_f64 v[2:3], v[118:119], -v[130:131]
	v_add_f64 v[14:15], v[58:59], v[98:99]
	v_fma_f64 v[12:13], s[6:7], v[2:3], v[78:79]
	v_fmac_f64_e32 v[78:79], s[8:9], v[2:3]
	v_add_f64 v[2:3], v[76:77], v[58:59]
	v_fmac_f64_e32 v[76:77], -0.5, v[14:15]
	ds_write_b64 v6, v[8:9] offset:1152
	v_add_f64 v[8:9], v[102:103], -v[132:133]
	v_fma_f64 v[14:15], s[6:7], v[8:9], v[76:77]
	v_fmac_f64_e32 v[76:77], s[8:9], v[8:9]
	v_add_f64 v[8:9], v[60:61], v[16:17]
	v_add_f64 v[24:25], v[74:75], v[60:61]
	v_fmac_f64_e32 v[74:75], -0.5, v[8:9]
	v_add_f64 v[8:9], v[10:11], v[96:97]
	v_mul_u32_u24_e32 v7, 0x6c0, v171
	v_lshlrev_b32_e32 v10, 3, v172
	v_add3_u32 v7, 0, v7, v10
	ds_write2_b64 v7, v[8:9], v[12:13] offset1:72
	v_add_f64 v[8:9], v[104:105], -v[138:139]
	v_add_f64 v[10:11], v[22:23], v[120:121]
	v_fma_f64 v[12:13], s[6:7], v[8:9], v[74:75]
	v_fmac_f64_e32 v[74:75], s[8:9], v[8:9]
	v_add_f64 v[8:9], v[0:1], v[22:23]
	v_fmac_f64_e32 v[0:1], -0.5, v[10:11]
	v_add_f64 v[26:27], v[100:101], -v[136:137]
	v_fma_f64 v[10:11], s[6:7], v[26:27], v[0:1]
	v_fmac_f64_e32 v[0:1], s[8:9], v[26:27]
	v_mul_u32_u24_e32 v26, 0x6c0, v173
	v_lshlrev_b32_e32 v27, 3, v174
	ds_write_b64 v7, v[78:79] offset:1152
	v_add_f64 v[2:3], v[2:3], v[98:99]
	v_add3_u32 v78, 0, v26, v27
	ds_write2_b64 v78, v[2:3], v[14:15] offset1:72
	ds_write_b64 v78, v[76:77] offset:1152
	v_mul_u32_u24_e32 v2, 0x6c0, v175
	v_lshlrev_b32_e32 v3, 3, v176
	v_add_f64 v[24:25], v[24:25], v[16:17]
	v_add3_u32 v76, 0, v2, v3
	ds_write2_b64 v76, v[24:25], v[12:13] offset1:72
	ds_write_b64 v76, v[74:75] offset:1152
	v_lshl_add_u32 v74, v177, 3, 0
	v_add_f64 v[8:9], v[8:9], v[120:121]
	v_add_u32_e32 v75, 0x2800, v74
	ds_write2_b64 v75, v[8:9], v[10:11] offset0:16 offset1:88
	ds_write_b64 v74, v[0:1] offset:11520
	s_waitcnt lgkmcnt(0)
	; wave barrier
	s_waitcnt lgkmcnt(0)
	ds_read2_b64 v[24:27], v143 offset1:63
	ds_read2_b64 v[28:31], v143 offset0:126 offset1:216
	v_add_u32_e32 v153, 0x800, v143
	ds_read_b64 v[140:141], v143 offset:11376
	ds_read2_b64 v[40:43], v153 offset0:176 offset1:239
	ds_read2_b64 v[36:39], v149 offset0:46 offset1:136
	;; [unrolled: 1-line block ×8, first 2 shown]
                                        ; implicit-def: $vgpr156_vgpr157
                                        ; implicit-def: $vgpr14_vgpr15
	s_and_saveexec_b64 s[10:11], s[2:3]
	s_cbranch_execz .LBB0_13
; %bb.12:
	v_add_u32_e32 v0, 0x500, v143
	ds_read2_b64 v[8:11], v0 offset0:29 offset1:245
	v_add_u32_e32 v0, 0x1300, v143
	ds_read2_b64 v[0:3], v0 offset0:13 offset1:229
	ds_read2_b64 v[12:15], v147 offset0:29 offset1:245
	ds_read_b64 v[156:157], v143 offset:11880
.LBB0_13:
	s_or_b64 exec, exec, s[10:11]
	v_add_f64 v[158:159], v[18:19], v[90:91]
	v_add_f64 v[90:91], v[90:91], v[122:123]
	v_fma_f64 v[90:91], -0.5, v[90:91], v[18:19]
	v_add_f64 v[18:19], v[82:83], -v[86:87]
	v_fma_f64 v[82:83], s[8:9], v[18:19], v[90:91]
	v_fmac_f64_e32 v[90:91], s[6:7], v[18:19]
	v_add_f64 v[18:19], v[20:21], v[92:93]
	v_add_f64 v[86:87], v[18:19], v[124:125]
	;; [unrolled: 1-line block ×3, first 2 shown]
	v_fmac_f64_e32 v[20:21], -0.5, v[18:19]
	v_add_f64 v[18:19], v[80:81], -v[88:89]
	v_fma_f64 v[80:81], s[8:9], v[18:19], v[20:21]
	v_fmac_f64_e32 v[20:21], s[6:7], v[18:19]
	v_add_f64 v[18:19], v[52:53], v[94:95]
	v_add_f64 v[88:89], v[18:19], v[134:135]
	;; [unrolled: 1-line block ×3, first 2 shown]
	v_fma_f64 v[52:53], -0.5, v[18:19], v[52:53]
	v_add_f64 v[18:19], v[84:85], -v[126:127]
	v_fma_f64 v[84:85], s[8:9], v[18:19], v[52:53]
	v_fmac_f64_e32 v[52:53], s[6:7], v[18:19]
	v_add_f64 v[18:19], v[54:55], v[70:71]
	v_add_f64 v[92:93], v[18:19], v[128:129]
	v_add_f64 v[18:19], v[70:71], v[128:129]
	v_fmac_f64_e32 v[54:55], -0.5, v[18:19]
	v_add_f64 v[18:19], v[56:57], -v[72:73]
	v_fma_f64 v[56:57], s[8:9], v[18:19], v[54:55]
	v_fmac_f64_e32 v[54:55], s[6:7], v[18:19]
	v_add_f64 v[18:19], v[68:69], v[118:119]
	v_add_f64 v[70:71], v[18:19], v[130:131]
	v_add_f64 v[18:19], v[118:119], v[130:131]
	v_fmac_f64_e32 v[68:69], -0.5, v[18:19]
	v_add_f64 v[18:19], v[62:63], -v[96:97]
	v_fma_f64 v[62:63], s[8:9], v[18:19], v[68:69]
	v_fmac_f64_e32 v[68:69], s[6:7], v[18:19]
	v_add_f64 v[18:19], v[66:67], v[102:103]
	v_add_f64 v[72:73], v[18:19], v[132:133]
	v_add_f64 v[18:19], v[102:103], v[132:133]
	v_fmac_f64_e32 v[66:67], -0.5, v[18:19]
	v_add_f64 v[18:19], v[58:59], -v[98:99]
	v_fma_f64 v[58:59], s[8:9], v[18:19], v[66:67]
	v_fmac_f64_e32 v[66:67], s[6:7], v[18:19]
	v_add_f64 v[18:19], v[64:65], v[104:105]
	v_add_f64 v[94:95], v[18:19], v[138:139]
	v_add_f64 v[18:19], v[104:105], v[138:139]
	v_fmac_f64_e32 v[64:65], -0.5, v[18:19]
	v_add_f64 v[16:17], v[60:61], -v[16:17]
	v_add_f64 v[18:19], v[100:101], v[136:137]
	v_add_f64 v[158:159], v[158:159], v[122:123]
	v_fma_f64 v[60:61], s[8:9], v[16:17], v[64:65]
	v_fmac_f64_e32 v[64:65], s[6:7], v[16:17]
	v_add_f64 v[16:17], v[4:5], v[100:101]
	v_fmac_f64_e32 v[4:5], -0.5, v[18:19]
	v_add_f64 v[22:23], v[22:23], -v[120:121]
	v_add_f64 v[16:17], v[16:17], v[136:137]
	v_fma_f64 v[18:19], s[8:9], v[22:23], v[4:5]
	v_fmac_f64_e32 v[4:5], s[6:7], v[22:23]
	s_waitcnt lgkmcnt(0)
	; wave barrier
	s_waitcnt lgkmcnt(0)
	ds_write2_b64 v143, v[158:159], v[82:83] offset1:72
	ds_write_b64 v143, v[90:91] offset:1152
	ds_write2_b64 v150, v[86:87], v[80:81] offset1:72
	ds_write_b64 v150, v[20:21] offset:1152
	ds_write2_b64 v151, v[88:89], v[84:85] offset1:72
	ds_write_b64 v151, v[52:53] offset:1152
	ds_write2_b64 v6, v[92:93], v[56:57] offset1:72
	ds_write_b64 v6, v[54:55] offset:1152
	ds_write2_b64 v7, v[70:71], v[62:63] offset1:72
	ds_write_b64 v7, v[68:69] offset:1152
	ds_write2_b64 v78, v[72:73], v[58:59] offset1:72
	ds_write_b64 v78, v[66:67] offset:1152
	ds_write2_b64 v76, v[94:95], v[60:61] offset1:72
	ds_write_b64 v76, v[64:65] offset:1152
	ds_write2_b64 v75, v[16:17], v[18:19] offset0:16 offset1:88
	ds_write_b64 v74, v[4:5] offset:11520
	s_waitcnt lgkmcnt(0)
	; wave barrier
	s_waitcnt lgkmcnt(0)
	ds_read2_b64 v[52:55], v143 offset1:63
	ds_read2_b64 v[70:73], v143 offset0:126 offset1:216
	ds_read2_b64 v[64:67], v153 offset0:176 offset1:239
	;; [unrolled: 1-line block ×9, first 2 shown]
	ds_read_b64 v[68:69], v143 offset:11376
                                        ; implicit-def: $vgpr158_vgpr159
                                        ; implicit-def: $vgpr22_vgpr23
	s_and_saveexec_b64 s[6:7], s[2:3]
	s_cbranch_execz .LBB0_15
; %bb.14:
	v_add_u32_e32 v4, 0x500, v143
	ds_read2_b64 v[16:19], v4 offset0:29 offset1:245
	v_add_u32_e32 v4, 0x1300, v143
	v_add_u32_e32 v20, 0x2000, v143
	ds_read2_b64 v[4:7], v4 offset0:13 offset1:229
	ds_read2_b64 v[20:23], v20 offset0:29 offset1:245
	ds_read_b64 v[158:159], v143 offset:11880
.LBB0_15:
	s_or_b64 exec, exec, s[6:7]
	s_and_saveexec_b64 s[6:7], s[0:1]
	s_cbranch_execz .LBB0_18
; %bb.16:
	v_mul_u32_u24_e32 v82, 6, v142
	v_lshlrev_b32_e32 v102, 4, v82
	global_load_dwordx4 v[82:85], v102, s[4:5] offset:3472
	global_load_dwordx4 v[86:89], v102, s[4:5] offset:3456
	;; [unrolled: 1-line block ×5, first 2 shown]
	s_nop 0
	global_load_dwordx4 v[102:105], v102, s[4:5] offset:3488
	s_mov_b32 s10, 0xaaaaaaaa
	s_mov_b32 s11, 0xbff2aaaa
	;; [unrolled: 1-line block ×20, first 2 shown]
	s_movk_i32 s24, 0x1000
	s_movk_i32 s26, 0x2000
	s_movk_i32 s27, 0x3000
	s_waitcnt vmcnt(5) lgkmcnt(5)
	v_mul_f64 v[136:137], v[74:75], v[84:85]
	v_fmac_f64_e32 v[136:137], v[44:45], v[82:83]
	s_waitcnt vmcnt(3)
	v_mul_f64 v[148:149], v[60:61], v[92:93]
	s_waitcnt vmcnt(1) lgkmcnt(0)
	v_mul_f64 v[132:133], v[68:69], v[100:101]
	v_mul_f64 v[100:101], v[140:141], v[100:101]
	;; [unrolled: 1-line block ×3, first 2 shown]
	v_fmac_f64_e32 v[132:133], v[140:141], v[98:99]
	v_fma_f64 v[98:99], v[68:69], v[98:99], -v[100:101]
	v_mul_f64 v[68:69], v[116:117], v[96:97]
	v_fmac_f64_e32 v[130:131], v[116:117], v[94:95]
	v_fmac_f64_e32 v[148:149], v[36:37], v[90:91]
	v_fma_f64 v[94:95], v[128:129], v[94:95], -v[68:69]
	s_waitcnt vmcnt(0)
	v_mul_f64 v[68:69], v[112:113], v[104:105]
	v_mul_f64 v[36:37], v[36:37], v[92:93]
	;; [unrolled: 1-line block ×3, first 2 shown]
	v_fma_f64 v[100:101], v[124:125], v[102:103], -v[68:69]
	v_fma_f64 v[36:37], v[60:61], v[90:91], -v[36:37]
	v_mul_f64 v[88:89], v[108:109], v[88:89]
	v_mul_f64 v[44:45], v[44:45], v[84:85]
	v_fmac_f64_e32 v[138:139], v[108:109], v[86:87]
	v_add_f64 v[96:97], v[94:95], v[98:99]
	v_add_f64 v[60:61], v[36:37], v[100:101]
	v_fma_f64 v[86:87], v[120:121], v[86:87], -v[88:89]
	v_fma_f64 v[44:45], v[74:75], v[82:83], -v[44:45]
	v_add_f64 v[68:69], v[96:97], v[60:61]
	v_add_f64 v[74:75], v[44:45], v[86:87]
	;; [unrolled: 1-line block ×4, first 2 shown]
	v_mov_b64_e32 v[90:91], v[70:71]
	v_mul_f64 v[150:151], v[124:125], v[104:105]
	v_fmac_f64_e32 v[90:91], s[10:11], v[68:69]
	v_add_f64 v[68:69], v[96:97], -v[74:75]
	v_add_f64 v[74:75], v[74:75], -v[60:61]
	v_fmac_f64_e32 v[150:151], v[112:113], v[102:103]
	v_mul_f64 v[74:75], v[74:75], s[12:13]
	v_mul_f64 v[88:89], v[68:69], s[14:15]
	v_fma_f64 v[68:69], s[14:15], v[68:69], v[74:75]
	v_add_f64 v[92:93], v[130:131], v[132:133]
	v_add_f64 v[104:105], v[148:149], v[150:151]
	;; [unrolled: 1-line block ×7, first 2 shown]
	v_mov_b64_e32 v[28:29], v[68:69]
	v_fmac_f64_e32 v[28:29], s[10:11], v[108:109]
	v_add_f64 v[108:109], v[92:93], -v[82:83]
	v_add_f64 v[82:83], v[82:83], -v[104:105]
	v_mul_f64 v[116:117], v[82:83], s[12:13]
	v_fma_f64 v[82:83], s[14:15], v[108:109], v[116:117]
	v_add_f64 v[44:45], v[44:45], -v[86:87]
	v_add_f64 v[36:37], v[36:37], -v[100:101]
	;; [unrolled: 1-line block ×4, first 2 shown]
	v_mul_f64 v[112:113], v[108:109], s[14:15]
	v_add_f64 v[108:109], v[82:83], v[28:29]
	v_add_f64 v[94:95], v[94:95], -v[98:99]
	v_add_f64 v[82:83], v[44:45], -v[36:37]
	;; [unrolled: 1-line block ×7, first 2 shown]
	v_mul_f64 v[98:99], v[82:83], s[8:9]
	v_add_f64 v[44:45], v[44:45], v[36:37]
	v_fma_f64 v[88:89], v[60:61], s[20:21], -v[88:89]
	v_fma_f64 v[92:93], v[96:97], s[20:21], -v[112:113]
	v_add_f64 v[36:37], v[36:37], -v[94:95]
	v_fma_f64 v[60:61], v[60:61], s[22:23], -v[74:75]
	v_add_f64 v[146:147], v[134:135], -v[144:145]
	v_mul_f64 v[164:165], v[164:165], s[8:9]
	v_add_f64 v[144:145], v[144:145], v[162:163]
	v_add_f64 v[44:45], v[94:95], v[44:45]
	v_add_f64 v[100:101], v[162:163], -v[134:135]
	v_add_f64 v[128:129], v[88:89], v[90:91]
	v_add_f64 v[104:105], v[92:93], v[28:29]
	v_mul_f64 v[92:93], v[36:37], s[18:19]
	v_add_f64 v[60:61], v[60:61], v[90:91]
	v_fma_f64 v[90:91], v[96:97], s[22:23], -v[116:117]
	v_fma_f64 v[36:37], v[36:37], s[18:19], -v[98:99]
	v_add_f64 v[144:145], v[134:135], v[144:145]
	v_fma_f64 v[74:75], v[100:101], s[18:19], -v[164:165]
	v_add_f64 v[28:29], v[90:91], v[28:29]
	v_fmac_f64_e32 v[36:37], s[0:1], v[44:45]
	v_mul_f64 v[124:125], v[100:101], s[18:19]
	v_fmac_f64_e32 v[74:75], s[0:1], v[144:145]
	v_add_f64 v[90:91], v[36:37], v[28:29]
	v_add_f64 v[94:95], v[28:29], -v[36:37]
	v_mov_b32_e32 v28, 0xfffffe86
	v_fma_f64 v[124:125], v[146:147], s[16:17], -v[124:125]
	v_fma_f64 v[112:113], v[86:87], s[16:17], -v[92:93]
	v_add_f64 v[92:93], v[60:61], -v[74:75]
	v_add_f64 v[96:97], v[74:75], v[60:61]
	v_mad_u32_u24 v74, v142, 6, v28
	v_mov_b32_e32 v75, 0
	v_fma_f64 v[166:167], s[6:7], v[146:147], v[164:165]
	v_fmac_f64_e32 v[124:125], s[0:1], v[144:145]
	v_lshl_add_u64 v[28:29], v[74:75], 4, s[4:5]
	v_fmac_f64_e32 v[166:167], s[0:1], v[144:145]
	v_add_f64 v[88:89], v[124:125], v[128:129]
	v_add_f64 v[100:101], v[128:129], -v[124:125]
	global_load_dwordx4 v[128:131], v[28:29], off offset:3472
	global_load_dwordx4 v[132:135], v[28:29], off offset:3456
	;; [unrolled: 1-line block ×6, first 2 shown]
	v_fma_f64 v[120:121], s[6:7], v[86:87], v[98:99]
	v_fmac_f64_e32 v[112:113], s[0:1], v[44:45]
	v_fmac_f64_e32 v[120:121], s[0:1], v[44:45]
	v_add_f64 v[86:87], v[104:105], -v[112:113]
	v_add_f64 v[98:99], v[112:113], v[104:105]
	v_add_f64 v[84:85], v[166:167], v[102:103]
	v_add_f64 v[82:83], v[108:109], -v[120:121]
	v_add_f64 v[104:105], v[102:103], -v[166:167]
	v_add_f64 v[102:103], v[120:121], v[108:109]
	v_mov_b32_e32 v153, v75
	s_waitcnt vmcnt(5)
	v_mul_f64 v[112:113], v[58:59], v[130:131]
	s_waitcnt vmcnt(4)
	v_mul_f64 v[116:117], v[118:119], v[134:135]
	;; [unrolled: 2-line block ×6, first 2 shown]
	v_fmac_f64_e32 v[44:45], v[114:115], v[140:141]
	v_fmac_f64_e32 v[60:61], v[50:51], v[148:149]
	;; [unrolled: 1-line block ×6, first 2 shown]
	v_add_f64 v[108:109], v[44:45], -v[60:61]
	v_add_f64 v[28:29], v[112:113], -v[116:117]
	;; [unrolled: 1-line block ×5, first 2 shown]
	v_add_f64 v[28:29], v[28:29], v[164:165]
	v_add_f64 v[170:171], v[108:109], v[28:29]
	v_mul_f64 v[28:29], v[50:51], v[150:151]
	v_fma_f64 v[50:51], v[80:81], v[148:149], -v[28:29]
	v_mul_f64 v[28:29], v[114:115], v[142:143]
	v_fma_f64 v[80:81], v[126:127], v[140:141], -v[28:29]
	;; [unrolled: 2-line block ×3, first 2 shown]
	v_mul_f64 v[28:29], v[42:43], v[138:139]
	v_mul_f64 v[166:167], v[36:37], s[8:9]
	v_fma_f64 v[42:43], v[66:67], v[136:137], -v[28:29]
	v_mul_f64 v[36:37], v[106:107], v[134:135]
	v_mul_f64 v[34:35], v[34:35], v[130:131]
	v_add_f64 v[114:115], v[80:81], v[50:51]
	v_add_f64 v[66:67], v[42:43], v[110:111]
	v_fma_f64 v[106:107], v[118:119], v[132:133], -v[36:37]
	v_fma_f64 v[58:59], v[58:59], v[128:129], -v[34:35]
	v_add_f64 v[28:29], v[114:115], v[66:67]
	v_add_f64 v[34:35], v[58:59], v[106:107]
	v_add_f64 v[28:29], v[34:35], v[28:29]
	v_add_f64 v[36:37], v[54:55], v[28:29]
	v_mov_b64_e32 v[54:55], v[36:37]
	v_fmac_f64_e32 v[54:55], s[10:11], v[28:29]
	v_add_f64 v[28:29], v[114:115], -v[34:35]
	v_add_f64 v[34:35], v[34:35], -v[66:67]
	v_add_f64 v[60:61], v[44:45], v[60:61]
	v_add_f64 v[124:125], v[124:125], v[162:163]
	v_mul_f64 v[122:123], v[34:35], s[12:13]
	v_add_f64 v[34:35], v[60:61], v[124:125]
	v_add_f64 v[44:45], v[112:113], v[116:117]
	;; [unrolled: 1-line block ×4, first 2 shown]
	v_add_f64 v[26:27], v[60:61], -v[44:45]
	v_add_f64 v[44:45], v[44:45], -v[124:125]
	v_mov_b64_e32 v[116:117], v[34:35]
	v_mul_f64 v[128:129], v[44:45], s[12:13]
	v_fmac_f64_e32 v[116:117], s[10:11], v[112:113]
	v_mul_f64 v[112:113], v[26:27], s[14:15]
	v_fma_f64 v[26:27], s[14:15], v[26:27], v[128:129]
	v_add_f64 v[130:131], v[26:27], v[116:117]
	v_add_f64 v[50:51], v[80:81], -v[50:51]
	v_add_f64 v[26:27], v[58:59], -v[106:107]
	;; [unrolled: 1-line block ×5, first 2 shown]
	v_add_f64 v[26:27], v[26:27], v[42:43]
	v_add_f64 v[106:107], v[50:51], v[26:27]
	v_add_f64 v[108:109], v[164:165], -v[108:109]
	v_add_f64 v[50:51], v[42:43], -v[50:51]
	v_mul_f64 v[118:119], v[28:29], s[14:15]
	v_mul_f64 v[80:81], v[44:45], s[8:9]
	;; [unrolled: 1-line block ×3, first 2 shown]
	v_add_f64 v[66:67], v[66:67], -v[114:115]
	v_mul_f64 v[42:43], v[50:51], s[18:19]
	v_fma_f64 v[28:29], s[14:15], v[28:29], v[122:123]
	v_fma_f64 v[132:133], s[6:7], v[58:59], v[80:81]
	v_fma_f64 v[110:111], v[120:121], s[16:17], -v[44:45]
	v_fma_f64 v[44:45], v[66:67], s[20:21], -v[118:119]
	v_add_f64 v[118:119], v[124:125], -v[60:61]
	v_fma_f64 v[124:125], v[58:59], s[16:17], -v[42:43]
	v_fma_f64 v[58:59], v[66:67], s[22:23], -v[122:123]
	v_add_f64 v[126:127], v[28:29], v[54:55]
	v_add_f64 v[114:115], v[44:45], v[54:55]
	;; [unrolled: 1-line block ×3, first 2 shown]
	v_fma_f64 v[58:59], v[118:119], s[22:23], -v[128:129]
	v_fma_f64 v[50:51], v[50:51], s[18:19], -v[80:81]
	;; [unrolled: 1-line block ×4, first 2 shown]
	v_add_f64 v[112:113], v[58:59], v[116:117]
	v_fmac_f64_e32 v[50:51], s[0:1], v[106:107]
	v_fma_f64 v[168:169], s[6:7], v[120:121], v[166:167]
	v_fmac_f64_e32 v[132:133], s[0:1], v[106:107]
	v_fmac_f64_e32 v[124:125], s[0:1], v[106:107]
	;; [unrolled: 1-line block ×3, first 2 shown]
	v_add_f64 v[58:59], v[50:51], v[112:113]
	v_add_f64 v[106:107], v[112:113], -v[50:51]
	v_mul_u32_u24_e32 v50, 6, v152
	v_fmac_f64_e32 v[168:169], s[0:1], v[170:171]
	v_fmac_f64_e32 v[110:111], s[0:1], v[170:171]
	v_add_f64 v[120:121], v[60:61], v[116:117]
	v_add_f64 v[60:61], v[54:55], -v[66:67]
	v_add_f64 v[108:109], v[66:67], v[54:55]
	v_lshlrev_b32_e32 v54, 4, v50
	v_add_f64 v[28:29], v[168:169], v[126:127]
	v_add_f64 v[26:27], v[130:131], -v[132:133]
	v_add_f64 v[44:45], v[110:111], v[114:115]
	v_add_f64 v[42:43], v[120:121], -v[124:125]
	v_add_f64 v[112:113], v[114:115], -v[110:111]
	v_add_f64 v[110:111], v[124:125], v[120:121]
	v_add_f64 v[116:117], v[126:127], -v[168:169]
	v_add_f64 v[114:115], v[132:133], v[130:131]
	global_load_dwordx4 v[118:121], v54, s[4:5] offset:3472
	global_load_dwordx4 v[122:125], v54, s[4:5] offset:3456
	;; [unrolled: 1-line block ×6, first 2 shown]
	s_waitcnt vmcnt(5)
	v_mul_f64 v[80:81], v[56:57], v[120:121]
	s_waitcnt vmcnt(4)
	v_mul_f64 v[142:143], v[62:63], v[124:125]
	;; [unrolled: 2-line block ×4, first 2 shown]
	v_fmac_f64_e32 v[50:51], v[30:31], v[130:131]
	v_mul_f64 v[30:31], v[30:31], v[132:133]
	s_waitcnt vmcnt(1)
	v_mul_f64 v[54:55], v[78:79], v[136:137]
	s_waitcnt vmcnt(0)
	v_mul_f64 v[150:151], v[76:77], v[140:141]
	v_fma_f64 v[72:73], v[72:73], v[130:131], -v[30:31]
	v_mul_f64 v[30:31], v[46:47], v[140:141]
	v_fmac_f64_e32 v[54:55], v[48:49], v[134:135]
	v_fmac_f64_e32 v[150:151], v[46:47], v[138:139]
	v_mul_f64 v[48:49], v[48:49], v[136:137]
	v_fma_f64 v[46:47], v[76:77], v[138:139], -v[30:31]
	v_mul_f64 v[30:31], v[40:41], v[128:129]
	v_fmac_f64_e32 v[80:81], v[32:33], v[118:119]
	v_fmac_f64_e32 v[142:143], v[38:39], v[122:123]
	;; [unrolled: 1-line block ×3, first 2 shown]
	v_fma_f64 v[78:79], v[78:79], v[134:135], -v[48:49]
	v_fma_f64 v[40:41], v[64:65], v[126:127], -v[30:31]
	v_mul_f64 v[38:39], v[38:39], v[124:125]
	v_mul_f64 v[32:33], v[32:33], v[120:121]
	v_add_f64 v[130:131], v[72:73], v[78:79]
	v_add_f64 v[64:65], v[40:41], v[46:47]
	v_fma_f64 v[38:39], v[62:63], v[122:123], -v[38:39]
	v_fma_f64 v[56:57], v[56:57], v[118:119], -v[32:33]
	v_add_f64 v[30:31], v[130:131], v[64:65]
	v_add_f64 v[48:49], v[56:57], v[38:39]
	v_add_f64 v[30:31], v[48:49], v[30:31]
	v_add_f64 v[32:33], v[52:53], v[30:31]
	v_mov_b64_e32 v[62:63], v[32:33]
	v_fmac_f64_e32 v[62:63], s[10:11], v[30:31]
	v_add_f64 v[30:31], v[130:131], -v[48:49]
	v_add_f64 v[48:49], v[48:49], -v[64:65]
	v_mul_f64 v[76:77], v[48:49], s[12:13]
	v_add_f64 v[66:67], v[50:51], -v[54:55]
	v_mul_f64 v[52:53], v[30:31], s[14:15]
	v_fma_f64 v[30:31], s[14:15], v[30:31], v[76:77]
	v_add_f64 v[50:51], v[50:51], v[54:55]
	v_add_f64 v[54:55], v[148:149], v[150:151]
	v_add_f64 v[144:145], v[80:81], -v[142:143]
	v_add_f64 v[118:119], v[30:31], v[62:63]
	v_add_f64 v[30:31], v[50:51], v[54:55]
	;; [unrolled: 1-line block ×5, first 2 shown]
	v_mov_b64_e32 v[24:25], v[30:31]
	v_fmac_f64_e32 v[24:25], s[10:11], v[120:121]
	v_add_f64 v[120:121], v[50:51], -v[80:81]
	v_add_f64 v[162:163], v[148:149], -v[150:151]
	v_mul_f64 v[122:123], v[120:121], s[14:15]
	v_add_f64 v[80:81], v[80:81], -v[54:55]
	v_add_f64 v[72:73], v[72:73], -v[78:79]
	;; [unrolled: 1-line block ×7, first 2 shown]
	v_add_f64 v[144:145], v[144:145], v[162:163]
	v_add_f64 v[56:57], v[72:73], -v[38:39]
	v_add_f64 v[46:47], v[38:39], -v[40:41]
	v_add_f64 v[38:39], v[38:39], v[40:41]
	v_fma_f64 v[50:51], v[54:55], s[20:21], -v[122:123]
	v_add_f64 v[40:41], v[40:41], -v[72:73]
	v_mul_f64 v[164:165], v[164:165], s[8:9]
	v_add_f64 v[144:145], v[66:67], v[144:145]
	v_mul_f64 v[80:81], v[80:81], s[12:13]
	v_mul_f64 v[78:79], v[46:47], s[8:9]
	v_add_f64 v[66:67], v[162:163], -v[66:67]
	v_add_f64 v[64:65], v[64:65], -v[130:131]
	v_add_f64 v[122:123], v[50:51], v[24:25]
	v_mul_f64 v[50:51], v[40:41], s[18:19]
	v_fma_f64 v[120:121], s[14:15], v[120:121], v[80:81]
	v_fma_f64 v[124:125], s[6:7], v[56:57], v[78:79]
	v_add_f64 v[38:39], v[72:73], v[38:39]
	v_mul_f64 v[126:127], v[66:67], s[18:19]
	v_fma_f64 v[52:53], v[64:65], s[20:21], -v[52:53]
	v_fma_f64 v[72:73], v[56:57], s[16:17], -v[50:51]
	;; [unrolled: 1-line block ×6, first 2 shown]
	v_fma_f64 v[166:167], s[6:7], v[146:147], v[164:165]
	v_add_f64 v[120:121], v[120:121], v[24:25]
	v_add_f64 v[24:25], v[54:55], v[24:25]
	v_fmac_f64_e32 v[66:67], s[0:1], v[38:39]
	v_fmac_f64_e32 v[166:167], s[0:1], v[144:145]
	;; [unrolled: 1-line block ×4, first 2 shown]
	v_add_f64 v[54:55], v[66:67], v[24:25]
	v_add_f64 v[38:39], v[24:25], -v[66:67]
	v_lshl_add_u64 v[24:25], v[152:153], 4, v[154:155]
	v_add_f64 v[78:79], v[118:119], -v[166:167]
	v_add_f64 v[76:77], v[124:125], v[120:121]
	global_store_dwordx4 v[24:25], v[30:33], off
	global_store_dwordx4 v[24:25], v[76:79], off offset:3456
	v_add_f64 v[128:129], v[52:53], v[62:63]
	v_add_co_u32_e32 v30, vcc, s24, v24
	v_add_f64 v[62:63], v[56:57], v[62:63]
	s_nop 0
	v_addc_co_u32_e32 v31, vcc, 0, v25, vcc
	v_fmac_f64_e32 v[64:65], s[0:1], v[144:145]
	v_add_co_u32_e32 v32, vcc, s26, v24
	v_add_f64 v[40:41], v[64:65], v[62:63]
	s_nop 0
	v_addc_co_u32_e32 v33, vcc, 0, v25, vcc
	global_store_dwordx4 v[32:33], v[38:41], off offset:2176
	v_fma_f64 v[126:127], v[146:147], s[16:17], -v[126:127]
	s_movk_i32 s24, 0x4000
	v_add_co_u32_e32 v38, vcc, s27, v24
	v_fmac_f64_e32 v[126:127], s[0:1], v[144:145]
	s_nop 0
	v_addc_co_u32_e32 v39, vcc, 0, v25, vcc
	v_add_co_u32_e32 v40, vcc, s24, v24
	v_add_f64 v[52:53], v[126:127], v[128:129]
	v_add_f64 v[50:51], v[122:123], -v[72:73]
	v_addc_co_u32_e32 v41, vcc, 0, v25, vcc
	s_movk_i32 s24, 0x5000
	global_store_dwordx4 v[40:41], v[50:53], off offset:896
	v_add_f64 v[48:49], v[166:167], v[118:119]
	v_add_f64 v[46:47], v[120:121], -v[124:125]
	v_add_co_u32_e32 v50, vcc, s24, v24
	v_add_f64 v[56:57], v[62:63], -v[64:65]
	v_add_f64 v[64:65], v[128:129], -v[126:127]
	v_add_f64 v[62:63], v[72:73], v[122:123]
	v_addc_co_u32_e32 v51, vcc, 0, v25, vcc
	s_mov_b32 s24, 0x97b425f
	global_store_dwordx4 v[30:31], v[62:65], off offset:2816
	global_store_dwordx4 v[38:39], v[54:57], off offset:1536
	;; [unrolled: 1-line block ×10, first 2 shown]
	s_nop 1
	v_mul_hi_u32 v26, v161, s24
	v_mul_u32_u24_e32 v74, 0x510, v26
	v_lshl_add_u64 v[26:27], v[74:75], 4, v[24:25]
	s_mov_b64 s[24:25], 0x7e0
	v_lshl_add_u64 v[28:29], v[26:27], 0, s[24:25]
	global_store_dwordx4 v[26:27], v[68:71], off offset:2016
	global_store_dwordx4 v[28:29], v[102:105], off offset:3456
	v_add_co_u32_e32 v28, vcc, s26, v26
	s_nop 1
	v_addc_co_u32_e32 v29, vcc, 0, v27, vcc
	global_store_dwordx4 v[28:29], v[98:101], off offset:736
	v_add_co_u32_e32 v28, vcc, s27, v26
	s_nop 1
	v_addc_co_u32_e32 v29, vcc, 0, v27, vcc
	global_store_dwordx4 v[28:29], v[94:97], off offset:96
	global_store_dwordx4 v[28:29], v[90:93], off offset:3552
	v_add_co_u32_e32 v28, vcc, 0x4000, v26
	s_nop 1
	v_addc_co_u32_e32 v29, vcc, 0, v27, vcc
	v_add_co_u32_e32 v26, vcc, 0x5000, v26
	global_store_dwordx4 v[28:29], v[86:89], off offset:2912
	s_nop 0
	v_addc_co_u32_e32 v27, vcc, 0, v27, vcc
	global_store_dwordx4 v[26:27], v[82:85], off offset:2272
	s_and_b64 exec, exec, s[2:3]
	s_cbranch_execz .LBB0_18
; %bb.17:
	v_subrev_u32_e32 v26, 27, v152
	v_cndmask_b32_e64 v26, v26, v160, s[2:3]
	v_mul_i32_i24_e32 v74, 6, v26
	v_lshl_add_u64 v[56:57], v[74:75], 4, s[4:5]
	global_load_dwordx4 v[26:29], v[56:57], off offset:3424
	global_load_dwordx4 v[34:37], v[56:57], off offset:3440
	;; [unrolled: 1-line block ×6, first 2 shown]
	s_waitcnt vmcnt(5)
	v_mul_f64 v[56:57], v[18:19], v[28:29]
	v_mul_f64 v[28:29], v[10:11], v[28:29]
	s_waitcnt vmcnt(4)
	v_mul_f64 v[58:59], v[4:5], v[36:37]
	v_mul_f64 v[36:37], v[0:1], v[36:37]
	;; [unrolled: 3-line block ×3, first 2 shown]
	s_waitcnt vmcnt(2)
	v_mul_f64 v[62:63], v[20:21], v[46:47]
	s_waitcnt vmcnt(1)
	v_mul_f64 v[64:65], v[22:23], v[50:51]
	v_mul_f64 v[50:51], v[14:15], v[50:51]
	s_waitcnt vmcnt(0)
	v_mul_f64 v[66:67], v[158:159], v[54:55]
	v_mul_f64 v[54:55], v[156:157], v[54:55]
	;; [unrolled: 1-line block ×3, first 2 shown]
	v_fmac_f64_e32 v[56:57], v[10:11], v[26:27]
	v_fma_f64 v[10:11], v[18:19], v[26:27], -v[28:29]
	v_fmac_f64_e32 v[58:59], v[0:1], v[34:35]
	v_fma_f64 v[0:1], v[4:5], v[34:35], -v[36:37]
	;; [unrolled: 2-line block ×3, first 2 shown]
	v_fmac_f64_e32 v[62:63], v[12:13], v[44:45]
	v_fmac_f64_e32 v[64:65], v[14:15], v[48:49]
	v_fma_f64 v[6:7], v[22:23], v[48:49], -v[50:51]
	v_fmac_f64_e32 v[66:67], v[156:157], v[52:53]
	v_fma_f64 v[12:13], v[158:159], v[52:53], -v[54:55]
	v_fma_f64 v[4:5], v[20:21], v[44:45], -v[46:47]
	v_add_f64 v[14:15], v[56:57], v[66:67]
	v_add_f64 v[18:19], v[10:11], v[12:13]
	v_add_f64 v[10:11], v[10:11], -v[12:13]
	v_add_f64 v[12:13], v[58:59], v[64:65]
	v_add_f64 v[22:23], v[0:1], v[6:7]
	v_add_f64 v[26:27], v[58:59], -v[64:65]
	v_add_f64 v[0:1], v[0:1], -v[6:7]
	v_add_f64 v[6:7], v[60:61], v[62:63]
	v_add_f64 v[28:29], v[2:3], v[4:5]
	v_add_f64 v[34:35], v[62:63], -v[60:61]
	;; [unrolled: 4-line block ×3, first 2 shown]
	v_add_f64 v[40:41], v[12:13], -v[14:15]
	v_add_f64 v[42:43], v[22:23], -v[18:19]
	;; [unrolled: 1-line block ×6, first 2 shown]
	v_add_f64 v[44:45], v[34:35], v[26:27]
	v_add_f64 v[48:49], v[34:35], -v[26:27]
	v_add_f64 v[4:5], v[6:7], v[4:5]
	v_add_f64 v[6:7], v[28:29], v[36:37]
	;; [unrolled: 1-line block ×3, first 2 shown]
	v_add_f64 v[50:51], v[2:3], -v[0:1]
	v_add_f64 v[34:35], v[20:21], -v[34:35]
	;; [unrolled: 1-line block ×5, first 2 shown]
	v_add_f64 v[20:21], v[44:45], v[20:21]
	v_mul_f64 v[14:15], v[14:15], s[14:15]
	v_mul_f64 v[18:19], v[18:19], s[14:15]
	;; [unrolled: 1-line block ×5, first 2 shown]
	v_add_f64 v[0:1], v[8:9], v[4:5]
	v_add_f64 v[2:3], v[16:17], v[6:7]
	;; [unrolled: 1-line block ×3, first 2 shown]
	v_mul_f64 v[46:47], v[50:51], s[8:9]
	v_mul_f64 v[48:49], v[26:27], s[18:19]
	;; [unrolled: 1-line block ×3, first 2 shown]
	v_fma_f64 v[8:9], s[12:13], v[12:13], v[14:15]
	v_fma_f64 v[12:13], v[40:41], s[22:23], -v[28:29]
	v_fma_f64 v[16:17], v[42:43], s[22:23], -v[36:37]
	;; [unrolled: 1-line block ×3, first 2 shown]
	v_fmac_f64_e32 v[18:19], s[12:13], v[22:23]
	v_fma_f64 v[36:37], s[6:7], v[34:35], v[44:45]
	v_fma_f64 v[22:23], v[26:27], s[18:19], -v[44:45]
	v_mov_b64_e32 v[42:43], v[0:1]
	v_mov_b64_e32 v[44:45], v[2:3]
	v_fma_f64 v[14:15], v[40:41], s[20:21], -v[14:15]
	v_fma_f64 v[26:27], v[54:55], s[18:19], -v[46:47]
	v_fmac_f64_e32 v[46:47], s[6:7], v[52:53]
	v_fma_f64 v[34:35], v[34:35], s[16:17], -v[48:49]
	v_fma_f64 v[40:41], v[52:53], s[16:17], -v[50:51]
	v_fmac_f64_e32 v[42:43], s[10:11], v[4:5]
	v_fmac_f64_e32 v[44:45], s[10:11], v[6:7]
	v_add_f64 v[48:49], v[8:9], v[42:43]
	v_add_f64 v[50:51], v[18:19], v[44:45]
	;; [unrolled: 1-line block ×6, first 2 shown]
	v_fmac_f64_e32 v[36:37], s[0:1], v[20:21]
	v_fmac_f64_e32 v[46:47], s[0:1], v[10:11]
	;; [unrolled: 1-line block ×6, first 2 shown]
	v_add_f64 v[4:5], v[46:47], v[48:49]
	v_add_f64 v[6:7], v[50:51], -v[36:37]
	v_add_f64 v[8:9], v[40:41], v[42:43]
	v_add_f64 v[10:11], v[28:29], -v[34:35]
	v_add_f64 v[12:13], v[18:19], -v[26:27]
	v_add_f64 v[14:15], v[22:23], v[52:53]
	global_store_dwordx4 v[24:25], v[0:3], off offset:3024
	global_store_dwordx4 v[30:31], v[4:7], off offset:2384
	;; [unrolled: 1-line block ×4, first 2 shown]
	v_add_co_u32_e32 v0, vcc, 0x4000, v24
	v_add_f64 v[16:17], v[26:27], v[18:19]
	v_add_f64 v[18:19], v[52:53], -v[22:23]
	v_addc_co_u32_e32 v1, vcc, 0, v25, vcc
	v_add_f64 v[20:21], v[42:43], -v[40:41]
	v_add_f64 v[22:23], v[34:35], v[28:29]
	global_store_dwordx4 v[0:1], v[16:19], off offset:464
	global_store_dwordx4 v[0:1], v[20:23], off offset:3920
	v_add_co_u32_e32 v0, vcc, 0x5000, v24
	v_add_f64 v[26:27], v[48:49], -v[46:47]
	v_add_f64 v[28:29], v[36:37], v[50:51]
	v_addc_co_u32_e32 v1, vcc, 0, v25, vcc
	global_store_dwordx4 v[0:1], v[26:29], off offset:3280
.LBB0_18:
	s_endpgm
	.section	.rodata,"a",@progbits
	.p2align	6, 0x0
	.amdhsa_kernel fft_rtc_back_len1512_factors_2_2_2_3_3_3_7_wgs_63_tpt_63_halfLds_dp_ip_CI_unitstride_sbrr_dirReg
		.amdhsa_group_segment_fixed_size 0
		.amdhsa_private_segment_fixed_size 0
		.amdhsa_kernarg_size 88
		.amdhsa_user_sgpr_count 2
		.amdhsa_user_sgpr_dispatch_ptr 0
		.amdhsa_user_sgpr_queue_ptr 0
		.amdhsa_user_sgpr_kernarg_segment_ptr 1
		.amdhsa_user_sgpr_dispatch_id 0
		.amdhsa_user_sgpr_kernarg_preload_length 0
		.amdhsa_user_sgpr_kernarg_preload_offset 0
		.amdhsa_user_sgpr_private_segment_size 0
		.amdhsa_uses_dynamic_stack 0
		.amdhsa_enable_private_segment 0
		.amdhsa_system_sgpr_workgroup_id_x 1
		.amdhsa_system_sgpr_workgroup_id_y 0
		.amdhsa_system_sgpr_workgroup_id_z 0
		.amdhsa_system_sgpr_workgroup_info 0
		.amdhsa_system_vgpr_workitem_id 0
		.amdhsa_next_free_vgpr 179
		.amdhsa_next_free_sgpr 28
		.amdhsa_accum_offset 180
		.amdhsa_reserve_vcc 1
		.amdhsa_float_round_mode_32 0
		.amdhsa_float_round_mode_16_64 0
		.amdhsa_float_denorm_mode_32 3
		.amdhsa_float_denorm_mode_16_64 3
		.amdhsa_dx10_clamp 1
		.amdhsa_ieee_mode 1
		.amdhsa_fp16_overflow 0
		.amdhsa_tg_split 0
		.amdhsa_exception_fp_ieee_invalid_op 0
		.amdhsa_exception_fp_denorm_src 0
		.amdhsa_exception_fp_ieee_div_zero 0
		.amdhsa_exception_fp_ieee_overflow 0
		.amdhsa_exception_fp_ieee_underflow 0
		.amdhsa_exception_fp_ieee_inexact 0
		.amdhsa_exception_int_div_zero 0
	.end_amdhsa_kernel
	.text
.Lfunc_end0:
	.size	fft_rtc_back_len1512_factors_2_2_2_3_3_3_7_wgs_63_tpt_63_halfLds_dp_ip_CI_unitstride_sbrr_dirReg, .Lfunc_end0-fft_rtc_back_len1512_factors_2_2_2_3_3_3_7_wgs_63_tpt_63_halfLds_dp_ip_CI_unitstride_sbrr_dirReg
                                        ; -- End function
	.section	.AMDGPU.csdata,"",@progbits
; Kernel info:
; codeLenInByte = 16868
; NumSgprs: 34
; NumVgprs: 179
; NumAgprs: 0
; TotalNumVgprs: 179
; ScratchSize: 0
; MemoryBound: 1
; FloatMode: 240
; IeeeMode: 1
; LDSByteSize: 0 bytes/workgroup (compile time only)
; SGPRBlocks: 4
; VGPRBlocks: 22
; NumSGPRsForWavesPerEU: 34
; NumVGPRsForWavesPerEU: 179
; AccumOffset: 180
; Occupancy: 2
; WaveLimiterHint : 1
; COMPUTE_PGM_RSRC2:SCRATCH_EN: 0
; COMPUTE_PGM_RSRC2:USER_SGPR: 2
; COMPUTE_PGM_RSRC2:TRAP_HANDLER: 0
; COMPUTE_PGM_RSRC2:TGID_X_EN: 1
; COMPUTE_PGM_RSRC2:TGID_Y_EN: 0
; COMPUTE_PGM_RSRC2:TGID_Z_EN: 0
; COMPUTE_PGM_RSRC2:TIDIG_COMP_CNT: 0
; COMPUTE_PGM_RSRC3_GFX90A:ACCUM_OFFSET: 44
; COMPUTE_PGM_RSRC3_GFX90A:TG_SPLIT: 0
	.text
	.p2alignl 6, 3212836864
	.fill 256, 4, 3212836864
	.type	__hip_cuid_16b17e621af8cd2e,@object ; @__hip_cuid_16b17e621af8cd2e
	.section	.bss,"aw",@nobits
	.globl	__hip_cuid_16b17e621af8cd2e
__hip_cuid_16b17e621af8cd2e:
	.byte	0                               ; 0x0
	.size	__hip_cuid_16b17e621af8cd2e, 1

	.ident	"AMD clang version 19.0.0git (https://github.com/RadeonOpenCompute/llvm-project roc-6.4.0 25133 c7fe45cf4b819c5991fe208aaa96edf142730f1d)"
	.section	".note.GNU-stack","",@progbits
	.addrsig
	.addrsig_sym __hip_cuid_16b17e621af8cd2e
	.amdgpu_metadata
---
amdhsa.kernels:
  - .agpr_count:     0
    .args:
      - .actual_access:  read_only
        .address_space:  global
        .offset:         0
        .size:           8
        .value_kind:     global_buffer
      - .offset:         8
        .size:           8
        .value_kind:     by_value
      - .actual_access:  read_only
        .address_space:  global
        .offset:         16
        .size:           8
        .value_kind:     global_buffer
      - .actual_access:  read_only
        .address_space:  global
        .offset:         24
        .size:           8
        .value_kind:     global_buffer
      - .offset:         32
        .size:           8
        .value_kind:     by_value
      - .actual_access:  read_only
        .address_space:  global
        .offset:         40
        .size:           8
        .value_kind:     global_buffer
      - .actual_access:  read_only
        .address_space:  global
        .offset:         48
        .size:           8
        .value_kind:     global_buffer
      - .offset:         56
        .size:           4
        .value_kind:     by_value
      - .actual_access:  read_only
        .address_space:  global
        .offset:         64
        .size:           8
        .value_kind:     global_buffer
      - .actual_access:  read_only
        .address_space:  global
        .offset:         72
        .size:           8
        .value_kind:     global_buffer
      - .address_space:  global
        .offset:         80
        .size:           8
        .value_kind:     global_buffer
    .group_segment_fixed_size: 0
    .kernarg_segment_align: 8
    .kernarg_segment_size: 88
    .language:       OpenCL C
    .language_version:
      - 2
      - 0
    .max_flat_workgroup_size: 63
    .name:           fft_rtc_back_len1512_factors_2_2_2_3_3_3_7_wgs_63_tpt_63_halfLds_dp_ip_CI_unitstride_sbrr_dirReg
    .private_segment_fixed_size: 0
    .sgpr_count:     34
    .sgpr_spill_count: 0
    .symbol:         fft_rtc_back_len1512_factors_2_2_2_3_3_3_7_wgs_63_tpt_63_halfLds_dp_ip_CI_unitstride_sbrr_dirReg.kd
    .uniform_work_group_size: 1
    .uses_dynamic_stack: false
    .vgpr_count:     179
    .vgpr_spill_count: 0
    .wavefront_size: 64
amdhsa.target:   amdgcn-amd-amdhsa--gfx950
amdhsa.version:
  - 1
  - 2
...

	.end_amdgpu_metadata
